;; amdgpu-corpus repo=ROCm/rocFFT kind=compiled arch=gfx950 opt=O3
	.text
	.amdgcn_target "amdgcn-amd-amdhsa--gfx950"
	.amdhsa_code_object_version 6
	.protected	bluestein_single_back_len1760_dim1_dp_op_CI_CI ; -- Begin function bluestein_single_back_len1760_dim1_dp_op_CI_CI
	.globl	bluestein_single_back_len1760_dim1_dp_op_CI_CI
	.p2align	8
	.type	bluestein_single_back_len1760_dim1_dp_op_CI_CI,@function
bluestein_single_back_len1760_dim1_dp_op_CI_CI: ; @bluestein_single_back_len1760_dim1_dp_op_CI_CI
; %bb.0:
	s_load_dwordx4 s[12:15], s[0:1], 0x28
	v_mul_u32_u24_e32 v1, 0x175, v0
	v_mov_b32_e32 v159, 0
	v_add_u32_sdwa v160, s2, v1 dst_sel:DWORD dst_unused:UNUSED_PAD src0_sel:DWORD src1_sel:WORD_1
	v_mov_b32_e32 v161, v159
	s_waitcnt lgkmcnt(0)
	v_cmp_gt_u64_e32 vcc, s[12:13], v[160:161]
	s_and_saveexec_b64 s[2:3], vcc
	s_cbranch_execz .LBB0_10
; %bb.1:
	s_load_dwordx4 s[4:7], s[0:1], 0x18
	s_load_dwordx4 s[8:11], s[0:1], 0x0
	v_mov_b32_e32 v2, s14
	v_mov_b32_e32 v3, s15
	s_movk_i32 s2, 0xb0
	s_waitcnt lgkmcnt(0)
	s_load_dwordx4 s[12:15], s[4:5], 0x0
	v_mul_lo_u16_sdwa v1, v1, s2 dst_sel:DWORD dst_unused:UNUSED_PAD src0_sel:WORD_1 src1_sel:DWORD
	v_sub_u16_e32 v158, v0, v1
	v_lshlrev_b32_e32 v156, 4, v158
	v_mov_b32_e32 v157, v159
	s_waitcnt lgkmcnt(0)
	v_mad_u64_u32 v[0:1], s[2:3], s14, v160, 0
	v_mov_b32_e32 v4, v1
	v_mad_u64_u32 v[4:5], s[2:3], s15, v160, v[4:5]
	v_mov_b32_e32 v1, v4
	v_mad_u64_u32 v[4:5], s[2:3], s12, v158, 0
	v_mov_b32_e32 v6, v5
	v_mad_u64_u32 v[6:7], s[2:3], s13, v158, v[6:7]
	v_mov_b32_e32 v5, v6
	v_lshl_add_u64 v[0:1], v[0:1], 4, v[2:3]
	v_lshl_add_u64 v[0:1], v[4:5], 4, v[0:1]
	v_mov_b32_e32 v2, 0x3700
	v_mad_u64_u32 v[4:5], s[2:3], s12, v2, v[0:1]
	v_lshl_add_u64 v[32:33], s[8:9], 0, v[156:157]
	s_mul_i32 s2, s13, 0x3700
	s_movk_i32 s3, 0x3000
	global_load_dwordx4 v[40:43], v[0:1], off
	v_add_u32_e32 v5, s2, v5
	v_add_co_u32_e32 v12, vcc, s3, v32
	v_mov_b32_e32 v0, 0xffffd400
	s_mul_i32 s3, s13, 0xffffd400
	v_mad_u64_u32 v[6:7], s[4:5], s12, v0, v[4:5]
	s_sub_i32 s3, s3, s12
	v_add_u32_e32 v7, s3, v7
	v_mad_u64_u32 v[14:15], s[4:5], s12, v2, v[6:7]
	v_addc_co_u32_e32 v13, vcc, 0, v33, vcc
	global_load_dwordx4 v[48:51], v[4:5], off
	global_load_dwordx4 v[44:47], v[6:7], off
	global_load_dwordx4 v[36:39], v156, s[8:9]
	global_load_dwordx4 v[216:219], v156, s[8:9] offset:2816
	s_movk_i32 s4, 0x4000
	v_add_co_u32_e32 v20, vcc, s4, v32
	v_add_u32_e32 v15, s2, v15
	s_nop 0
	v_addc_co_u32_e32 v21, vcc, 0, v33, vcc
	global_load_dwordx4 v[232:235], v[12:13], off offset:1792
	global_load_dwordx4 v[220:223], v[20:21], off offset:512
	v_mad_u64_u32 v[12:13], s[4:5], s12, v0, v[14:15]
	v_add_u32_e32 v13, s3, v13
	s_movk_i32 s4, 0x1000
	v_add_co_u32_e32 v22, vcc, s4, v32
	v_mad_u64_u32 v[24:25], s[4:5], s12, v2, v[12:13]
	global_load_dwordx4 v[52:55], v[14:15], off
	global_load_dwordx4 v[56:59], v[12:13], off
	v_add_u32_e32 v25, s2, v25
	v_addc_co_u32_e32 v23, vcc, 0, v33, vcc
	global_load_dwordx4 v[60:63], v[24:25], off
	global_load_dwordx4 v[248:251], v[22:23], off offset:1536
	global_load_dwordx4 v[244:247], v[20:21], off offset:3328
	v_mad_u64_u32 v[20:21], s[4:5], s12, v0, v[24:25]
	v_add_u32_e32 v21, s3, v21
	s_movk_i32 s4, 0x2000
	v_add_co_u32_e32 v34, vcc, s4, v32
	v_mad_u64_u32 v[24:25], s[4:5], s12, v2, v[20:21]
	s_nop 0
	v_addc_co_u32_e32 v35, vcc, 0, v33, vcc
	v_add_u32_e32 v25, s2, v25
	s_movk_i32 s4, 0x5000
	global_load_dwordx4 v[64:67], v[20:21], off
	v_add_co_u32_e32 v26, vcc, s4, v32
	v_mad_u64_u32 v[76:77], s[4:5], s12, v0, v[24:25]
	global_load_dwordx4 v[68:71], v[24:25], off
	v_addc_co_u32_e32 v27, vcc, 0, v33, vcc
	global_load_dwordx4 v[28:31], v[34:35], off offset:256
	global_load_dwordx4 v[252:255], v[26:27], off offset:2048
	v_add_u32_e32 v77, s3, v77
	global_load_dwordx4 v[72:75], v[76:77], off
	global_load_dwordx4 v[4:7], v[34:35], off offset:3072
	v_mad_u64_u32 v[34:35], s[4:5], s12, v2, v[76:77]
	v_add_u32_e32 v35, s2, v35
	s_movk_i32 s2, 0x6000
	v_add_co_u32_e32 v32, vcc, s2, v32
	global_load_dwordx4 v[76:79], v[34:35], off
	s_nop 0
	v_addc_co_u32_e32 v33, vcc, 0, v33, vcc
	global_load_dwordx4 v[32:35], v[32:33], off offset:768
	s_load_dwordx4 s[4:7], s[6:7], 0x0
	s_mov_b64 s[2:3], 0xb0
	v_lshl_add_u64 v[140:141], v[158:159], 0, s[2:3]
	v_lshlrev_b32_e32 v213, 5, v158
	v_lshlrev_b32_e32 v224, 5, v140
	s_movk_i32 s2, 0x1fc
	s_movk_i32 s12, 0xa0
	v_cmp_gt_u16_e32 vcc, s12, v158
                                        ; implicit-def: $vgpr136_vgpr137
	s_waitcnt vmcnt(16)
	v_mul_f64 v[80:81], v[42:43], v[38:39]
	v_fmac_f64_e32 v[80:81], v[40:41], v[36:37]
	v_mul_f64 v[40:41], v[40:41], v[38:39]
	v_fma_f64 v[82:83], v[42:43], v[36:37], -v[40:41]
	ds_write_b128 v156, v[80:83]
	s_waitcnt vmcnt(14)
	v_mul_f64 v[40:41], v[50:51], v[234:235]
	v_mul_f64 v[42:43], v[48:49], v[234:235]
	v_fmac_f64_e32 v[40:41], v[48:49], v[232:233]
	v_fma_f64 v[42:43], v[50:51], v[232:233], -v[42:43]
	ds_write_b128 v156, v[40:43] offset:14080
	v_mul_f64 v[40:41], v[46:47], v[218:219]
	v_mul_f64 v[42:43], v[44:45], v[218:219]
	v_fmac_f64_e32 v[40:41], v[44:45], v[216:217]
	v_fma_f64 v[42:43], v[46:47], v[216:217], -v[42:43]
	ds_write_b128 v156, v[40:43] offset:2816
	s_waitcnt vmcnt(12)
	v_mul_f64 v[40:41], v[54:55], v[222:223]
	v_mul_f64 v[42:43], v[52:53], v[222:223]
	v_fmac_f64_e32 v[40:41], v[52:53], v[220:221]
	v_fma_f64 v[42:43], v[54:55], v[220:221], -v[42:43]
	ds_write_b128 v156, v[40:43] offset:16896
	s_waitcnt vmcnt(9)
	;; [unrolled: 6-line block ×3, first 2 shown]
	v_mul_f64 v[40:41], v[62:63], v[246:247]
	v_mul_f64 v[42:43], v[60:61], v[246:247]
	v_fmac_f64_e32 v[40:41], v[60:61], v[244:245]
	v_fma_f64 v[42:43], v[62:63], v[244:245], -v[42:43]
	ds_write_b128 v156, v[40:43] offset:19712
	v_lshlrev_b32_e32 v52, 1, v158
	v_add_u32_e32 v53, 0x2c0, v52
	v_lshlrev_b32_e32 v0, 4, v52
	v_lshlrev_b32_e32 v225, 4, v53
	s_waitcnt vmcnt(5)
	v_mul_f64 v[40:41], v[66:67], v[30:31]
	v_mul_f64 v[42:43], v[64:65], v[30:31]
	v_fmac_f64_e32 v[40:41], v[64:65], v[28:29]
	v_fma_f64 v[42:43], v[66:67], v[28:29], -v[42:43]
	ds_write_b128 v156, v[40:43] offset:8448
	s_waitcnt vmcnt(4)
	v_mul_f64 v[40:41], v[70:71], v[254:255]
	v_mul_f64 v[42:43], v[68:69], v[254:255]
	v_fmac_f64_e32 v[40:41], v[68:69], v[252:253]
	v_fma_f64 v[42:43], v[70:71], v[252:253], -v[42:43]
	ds_write_b128 v156, v[40:43] offset:22528
	;; [unrolled: 6-line block ×4, first 2 shown]
	s_waitcnt lgkmcnt(0)
	s_barrier
	ds_read_b128 v[40:43], v156 offset:14080
	ds_read_b128 v[44:47], v156
	ds_read_b128 v[48:51], v156 offset:2816
	ds_read_b128 v[54:57], v156 offset:16896
	;; [unrolled: 1-line block ×8, first 2 shown]
	s_waitcnt lgkmcnt(8)
	v_add_f64 v[40:41], v[44:45], -v[40:41]
	v_add_f64 v[42:43], v[46:47], -v[42:43]
	s_waitcnt lgkmcnt(6)
	v_add_f64 v[54:55], v[48:49], -v[54:55]
	v_add_f64 v[56:57], v[50:51], -v[56:57]
	v_fma_f64 v[44:45], v[44:45], 2.0, -v[40:41]
	v_fma_f64 v[46:47], v[46:47], 2.0, -v[42:43]
	;; [unrolled: 1-line block ×4, first 2 shown]
	s_waitcnt lgkmcnt(4)
	v_add_f64 v[58:59], v[62:63], -v[58:59]
	v_add_f64 v[60:61], v[64:65], -v[60:61]
	s_waitcnt lgkmcnt(1)
	v_add_f64 v[74:75], v[66:67], -v[74:75]
	v_add_f64 v[76:77], v[68:69], -v[76:77]
	;; [unrolled: 3-line block ×3, first 2 shown]
	v_fma_f64 v[62:63], v[62:63], 2.0, -v[58:59]
	v_fma_f64 v[64:65], v[64:65], 2.0, -v[60:61]
	;; [unrolled: 1-line block ×6, first 2 shown]
	s_barrier
	ds_write_b128 v213, v[44:47]
	ds_write_b128 v213, v[40:43] offset:16
	ds_write_b128 v224, v[48:51]
	ds_write_b128 v224, v[54:57] offset:16
	v_add_u32_e32 v54, 0x420, v52
	v_add_u32_e32 v55, 0x580, v52
	ds_write_b128 v0, v[62:65] offset:11264
	ds_write_b128 v225, v[58:61] offset:16
	v_lshlrev_b32_e32 v229, 4, v54
	ds_write_b128 v0, v[66:69] offset:16896
	ds_write_b128 v229, v[74:77] offset:16
	v_lshlrev_b32_e32 v236, 4, v55
	ds_write_b128 v0, v[70:73] offset:22528
	ds_write_b128 v236, v[78:81] offset:16
	v_and_b32_e32 v0, 1, v158
	v_lshlrev_b32_e32 v1, 4, v0
	s_waitcnt lgkmcnt(0)
	s_barrier
	global_load_dwordx4 v[40:43], v1, s[10:11]
	ds_read_b128 v[44:47], v156 offset:14080
	ds_read_b128 v[48:51], v156
	ds_read_b128 v[56:59], v156 offset:2816
	ds_read_b128 v[62:65], v156 offset:16896
	;; [unrolled: 1-line block ×8, first 2 shown]
	v_lshlrev_b32_e32 v60, 1, v140
	v_and_or_b32 v1, v52, s2, v0
	s_movk_i32 s2, 0x3fc
	v_lshlrev_b32_e32 v237, 4, v1
	v_and_or_b32 v1, v60, s2, v0
	v_lshlrev_b32_e32 v1, 4, v1
	s_movk_i32 s2, 0x7fc
	s_waitcnt lgkmcnt(0)
	s_barrier
	v_accvgpr_write_b32 a35, v1
	v_accvgpr_write_b32 a27, v7
	v_accvgpr_write_b32 a26, v6
	v_accvgpr_write_b32 a25, v5
	v_accvgpr_write_b32 a24, v4
	s_waitcnt vmcnt(0)
	v_mul_f64 v[90:91], v[46:47], v[42:43]
	v_fma_f64 v[90:91], v[44:45], v[40:41], -v[90:91]
	v_mul_f64 v[92:93], v[44:45], v[42:43]
	v_mul_f64 v[44:45], v[64:65], v[42:43]
	v_fma_f64 v[94:95], v[62:63], v[40:41], -v[44:45]
	v_mul_f64 v[44:45], v[68:69], v[42:43]
	;; [unrolled: 3-line block ×3, first 2 shown]
	v_fmac_f64_e32 v[92:93], v[46:47], v[40:41]
	v_fmac_f64_e32 v[96:97], v[64:65], v[40:41]
	v_fma_f64 v[102:103], v[82:83], v[40:41], -v[44:45]
	v_mul_f64 v[44:45], v[88:89], v[42:43]
	v_mul_f64 v[100:101], v[66:67], v[42:43]
	v_fma_f64 v[106:107], v[86:87], v[40:41], -v[44:45]
	v_add_f64 v[44:45], v[48:49], -v[90:91]
	v_add_f64 v[46:47], v[50:51], -v[92:93]
	;; [unrolled: 1-line block ×4, first 2 shown]
	v_fmac_f64_e32 v[100:101], v[68:69], v[40:41]
	v_fma_f64 v[48:49], v[48:49], 2.0, -v[44:45]
	v_fma_f64 v[50:51], v[50:51], 2.0, -v[46:47]
	;; [unrolled: 1-line block ×4, first 2 shown]
	v_mul_f64 v[104:105], v[82:83], v[42:43]
	v_mul_f64 v[108:109], v[86:87], v[42:43]
	v_add_f64 v[66:67], v[70:71], -v[98:99]
	v_add_f64 v[68:69], v[72:73], -v[100:101]
	ds_write_b128 v237, v[48:51]
	ds_write_b128 v237, v[44:47] offset:32
	ds_write_b128 v1, v[56:59]
	ds_write_b128 v1, v[62:65] offset:32
	v_and_or_b32 v1, v53, s2, v0
	v_fmac_f64_e32 v[104:105], v[84:85], v[40:41]
	v_fmac_f64_e32 v[108:109], v[88:89], v[40:41]
	v_fma_f64 v[70:71], v[70:71], 2.0, -v[66:67]
	v_fma_f64 v[72:73], v[72:73], 2.0, -v[68:69]
	v_lshlrev_b32_e32 v1, 4, v1
	v_add_f64 v[82:83], v[74:75], -v[102:103]
	v_add_f64 v[84:85], v[76:77], -v[104:105]
	;; [unrolled: 1-line block ×4, first 2 shown]
	ds_write_b128 v1, v[70:73]
	v_accvgpr_write_b32 a36, v1
	ds_write_b128 v1, v[66:69] offset:32
	v_and_or_b32 v1, v54, s2, v0
	v_and_or_b32 v0, v55, s2, v0
	v_fma_f64 v[74:75], v[74:75], 2.0, -v[82:83]
	v_fma_f64 v[76:77], v[76:77], 2.0, -v[84:85]
	;; [unrolled: 1-line block ×4, first 2 shown]
	v_lshlrev_b32_e32 v1, 4, v1
	v_lshlrev_b32_e32 v0, 4, v0
	ds_write_b128 v1, v[74:77]
	ds_write_b128 v1, v[82:85] offset:32
	ds_write_b128 v0, v[78:81]
	v_accvgpr_write_b32 a38, v0
	ds_write_b128 v0, v[86:89] offset:32
	v_and_b32_e32 v0, 3, v158
	v_accvgpr_write_b32 a37, v1
	v_lshlrev_b32_e32 v1, 4, v0
	s_waitcnt lgkmcnt(0)
	s_barrier
	global_load_dwordx4 v[44:47], v1, s[10:11] offset:32
	ds_read_b128 v[48:51], v156 offset:14080
	ds_read_b128 v[56:59], v156
	ds_read_b128 v[62:65], v156 offset:2816
	ds_read_b128 v[66:69], v156 offset:16896
	;; [unrolled: 1-line block ×8, first 2 shown]
	s_movk_i32 s2, 0x1f8
	v_and_or_b32 v1, v52, s2, v0
	v_lshlrev_b32_e32 v1, 4, v1
	s_movk_i32 s2, 0x3f8
	s_waitcnt lgkmcnt(0)
	s_barrier
	v_accvgpr_write_b32 a39, v1
	s_waitcnt vmcnt(0)
	v_mul_f64 v[94:95], v[50:51], v[46:47]
	v_fma_f64 v[94:95], v[48:49], v[44:45], -v[94:95]
	v_mul_f64 v[96:97], v[48:49], v[46:47]
	v_mul_f64 v[48:49], v[68:69], v[46:47]
	v_fma_f64 v[98:99], v[66:67], v[44:45], -v[48:49]
	v_mul_f64 v[48:49], v[72:73], v[46:47]
	v_fma_f64 v[102:103], v[70:71], v[44:45], -v[48:49]
	v_mul_f64 v[48:49], v[88:89], v[46:47]
	v_fmac_f64_e32 v[96:97], v[50:51], v[44:45]
	v_fma_f64 v[106:107], v[86:87], v[44:45], -v[48:49]
	v_mul_f64 v[48:49], v[92:93], v[46:47]
	v_mul_f64 v[100:101], v[66:67], v[46:47]
	v_fma_f64 v[110:111], v[90:91], v[44:45], -v[48:49]
	v_add_f64 v[48:49], v[56:57], -v[94:95]
	v_add_f64 v[50:51], v[58:59], -v[96:97]
	v_fmac_f64_e32 v[100:101], v[68:69], v[44:45]
	v_fma_f64 v[56:57], v[56:57], 2.0, -v[48:49]
	v_fma_f64 v[58:59], v[58:59], 2.0, -v[50:51]
	v_mul_f64 v[104:105], v[70:71], v[46:47]
	v_add_f64 v[66:67], v[62:63], -v[98:99]
	v_add_f64 v[68:69], v[64:65], -v[100:101]
	ds_write_b128 v1, v[56:59]
	ds_write_b128 v1, v[48:51] offset:64
	v_and_or_b32 v1, v60, s2, v0
	v_fmac_f64_e32 v[104:105], v[72:73], v[44:45]
	v_fma_f64 v[62:63], v[62:63], 2.0, -v[66:67]
	v_fma_f64 v[64:65], v[64:65], 2.0, -v[68:69]
	v_lshlrev_b32_e32 v1, 4, v1
	s_movk_i32 s2, 0x7f8
	v_mul_f64 v[108:109], v[86:87], v[46:47]
	v_mul_f64 v[112:113], v[90:91], v[46:47]
	v_add_f64 v[70:71], v[74:75], -v[102:103]
	v_add_f64 v[72:73], v[76:77], -v[104:105]
	ds_write_b128 v1, v[62:65]
	v_accvgpr_write_b32 a40, v1
	ds_write_b128 v1, v[66:69] offset:64
	v_and_or_b32 v1, v53, s2, v0
	v_fmac_f64_e32 v[108:109], v[88:89], v[44:45]
	v_fmac_f64_e32 v[112:113], v[92:93], v[44:45]
	v_fma_f64 v[74:75], v[74:75], 2.0, -v[70:71]
	v_fma_f64 v[76:77], v[76:77], 2.0, -v[72:73]
	v_lshlrev_b32_e32 v1, 4, v1
	v_add_f64 v[86:87], v[78:79], -v[106:107]
	v_add_f64 v[88:89], v[80:81], -v[108:109]
	;; [unrolled: 1-line block ×4, first 2 shown]
	ds_write_b128 v1, v[74:77]
	v_accvgpr_write_b32 a41, v1
	ds_write_b128 v1, v[70:73] offset:64
	v_and_or_b32 v1, v54, s2, v0
	v_and_or_b32 v0, v55, s2, v0
	v_fma_f64 v[78:79], v[78:79], 2.0, -v[86:87]
	v_fma_f64 v[80:81], v[80:81], 2.0, -v[88:89]
	;; [unrolled: 1-line block ×4, first 2 shown]
	v_lshlrev_b32_e32 v1, 4, v1
	v_lshlrev_b32_e32 v0, 4, v0
	ds_write_b128 v1, v[78:81]
	ds_write_b128 v1, v[86:89] offset:64
	ds_write_b128 v0, v[82:85]
	v_accvgpr_write_b32 a43, v0
	ds_write_b128 v0, v[90:93] offset:64
	v_and_b32_e32 v0, 7, v158
	v_accvgpr_write_b32 a42, v1
	v_lshlrev_b32_e32 v1, 4, v0
	s_waitcnt lgkmcnt(0)
	s_barrier
	global_load_dwordx4 v[48:51], v1, s[10:11] offset:96
	ds_read_b128 v[56:59], v156 offset:14080
	ds_read_b128 v[62:65], v156
	ds_read_b128 v[66:69], v156 offset:2816
	ds_read_b128 v[70:73], v156 offset:16896
	;; [unrolled: 1-line block ×6, first 2 shown]
	s_movk_i32 s2, 0x1f0
	v_and_or_b32 v1, v52, s2, v0
	v_lshlrev_b32_e32 v1, 4, v1
	s_movk_i32 s2, 0x3f0
	v_accvgpr_write_b32 a44, v1
	s_waitcnt vmcnt(0) lgkmcnt(7)
	v_mul_f64 v[90:91], v[58:59], v[50:51]
	v_fma_f64 v[90:91], v[56:57], v[48:49], -v[90:91]
	v_mul_f64 v[92:93], v[56:57], v[50:51]
	s_waitcnt lgkmcnt(4)
	v_mul_f64 v[56:57], v[72:73], v[50:51]
	v_fma_f64 v[94:95], v[70:71], v[48:49], -v[56:57]
	s_waitcnt lgkmcnt(3)
	v_mul_f64 v[56:57], v[76:77], v[50:51]
	v_fma_f64 v[98:99], v[74:75], v[48:49], -v[56:57]
	v_mul_f64 v[100:101], v[74:75], v[50:51]
	s_waitcnt lgkmcnt(1)
	v_mul_f64 v[56:57], v[84:85], v[50:51]
	v_fmac_f64_e32 v[92:93], v[58:59], v[48:49]
	v_fmac_f64_e32 v[100:101], v[76:77], v[48:49]
	v_fma_f64 v[102:103], v[82:83], v[48:49], -v[56:57]
	s_waitcnt lgkmcnt(0)
	v_mul_f64 v[56:57], v[88:89], v[50:51]
	ds_read_b128 v[74:77], v156 offset:5632
	v_mul_f64 v[96:97], v[70:71], v[50:51]
	v_mul_f64 v[104:105], v[82:83], v[50:51]
	v_fma_f64 v[106:107], v[86:87], v[48:49], -v[56:57]
	v_add_f64 v[56:57], v[62:63], -v[90:91]
	v_add_f64 v[58:59], v[64:65], -v[92:93]
	v_fmac_f64_e32 v[96:97], v[72:73], v[48:49]
	v_fmac_f64_e32 v[104:105], v[84:85], v[48:49]
	ds_read_b128 v[82:85], v156 offset:8448
	v_fma_f64 v[62:63], v[62:63], 2.0, -v[56:57]
	v_fma_f64 v[64:65], v[64:65], 2.0, -v[58:59]
	v_add_f64 v[70:71], v[66:67], -v[94:95]
	v_add_f64 v[72:73], v[68:69], -v[96:97]
	s_waitcnt lgkmcnt(0)
	s_barrier
	ds_write_b128 v1, v[62:65]
	ds_write_b128 v1, v[56:59] offset:128
	v_and_or_b32 v1, v60, s2, v0
	v_mul_f64 v[108:109], v[86:87], v[50:51]
	v_fma_f64 v[66:67], v[66:67], 2.0, -v[70:71]
	v_fma_f64 v[68:69], v[68:69], 2.0, -v[72:73]
	v_lshlrev_b32_e32 v1, 4, v1
	s_movk_i32 s2, 0x7f0
	v_fmac_f64_e32 v[108:109], v[88:89], v[48:49]
	v_add_f64 v[86:87], v[74:75], -v[98:99]
	v_add_f64 v[88:89], v[76:77], -v[100:101]
	ds_write_b128 v1, v[66:69]
	v_accvgpr_write_b32 a45, v1
	ds_write_b128 v1, v[70:73] offset:128
	v_and_or_b32 v1, v53, s2, v0
	v_fma_f64 v[74:75], v[74:75], 2.0, -v[86:87]
	v_fma_f64 v[76:77], v[76:77], 2.0, -v[88:89]
	v_lshlrev_b32_e32 v1, 4, v1
	v_add_f64 v[90:91], v[82:83], -v[102:103]
	v_add_f64 v[92:93], v[84:85], -v[104:105]
	;; [unrolled: 1-line block ×4, first 2 shown]
	ds_write_b128 v1, v[74:77]
	v_accvgpr_write_b32 a46, v1
	ds_write_b128 v1, v[86:89] offset:128
	v_and_or_b32 v1, v54, s2, v0
	v_and_or_b32 v0, v55, s2, v0
	v_fma_f64 v[82:83], v[82:83], 2.0, -v[90:91]
	v_fma_f64 v[84:85], v[84:85], 2.0, -v[92:93]
	;; [unrolled: 1-line block ×4, first 2 shown]
	v_lshlrev_b32_e32 v1, 4, v1
	v_lshlrev_b32_e32 v0, 4, v0
	ds_write_b128 v1, v[82:85]
	ds_write_b128 v1, v[90:93] offset:128
	ds_write_b128 v0, v[78:81]
	v_accvgpr_write_b32 a48, v0
	ds_write_b128 v0, v[94:97] offset:128
	v_and_b32_e32 v0, 15, v158
	v_accvgpr_write_b32 a47, v1
	v_lshlrev_b32_e32 v1, 4, v0
	s_waitcnt lgkmcnt(0)
	s_barrier
	global_load_dwordx4 v[56:59], v1, s[10:11] offset:224
	ds_read_b128 v[62:65], v156 offset:14080
	ds_read_b128 v[66:69], v156 offset:16896
	;; [unrolled: 1-line block ×6, first 2 shown]
	s_movk_i32 s2, 0x1e0
	v_and_or_b32 v1, v52, s2, v0
	s_movk_i32 s2, 0x3e0
	v_and_or_b32 v2, v60, s2, v0
	;; [unrolled: 2-line block ×3, first 2 shown]
	v_and_or_b32 v4, v54, s2, v0
	v_and_or_b32 v0, v55, s2, v0
	s_load_dwordx2 s[2:3], s[0:1], 0x38
	v_lshlrev_b32_e32 v157, 4, v1
	v_lshlrev_b32_e32 v1, 4, v2
	v_accvgpr_write_b32 a50, v1
	v_lshlrev_b32_e32 v161, 4, v4
	v_lshlrev_b32_e32 v159, 4, v0
	s_waitcnt vmcnt(0) lgkmcnt(0)
	v_mul_f64 v[86:87], v[64:65], v[58:59]
	v_fma_f64 v[86:87], v[62:63], v[56:57], -v[86:87]
	v_mul_f64 v[88:89], v[62:63], v[58:59]
	v_mul_f64 v[62:63], v[68:69], v[58:59]
	v_fma_f64 v[90:91], v[66:67], v[56:57], -v[62:63]
	v_mul_f64 v[62:63], v[72:73], v[58:59]
	v_fma_f64 v[94:95], v[70:71], v[56:57], -v[62:63]
	v_mul_f64 v[70:71], v[70:71], v[58:59]
	v_mul_f64 v[62:63], v[80:81], v[58:59]
	v_mul_f64 v[92:93], v[66:67], v[58:59]
	v_fmac_f64_e32 v[70:71], v[72:73], v[56:57]
	v_fma_f64 v[72:73], v[78:79], v[56:57], -v[62:63]
	v_mul_f64 v[78:79], v[78:79], v[58:59]
	v_mul_f64 v[66:67], v[84:85], v[58:59]
	v_fmac_f64_e32 v[88:89], v[64:65], v[56:57]
	v_fmac_f64_e32 v[92:93], v[68:69], v[56:57]
	;; [unrolled: 1-line block ×3, first 2 shown]
	ds_read_b128 v[62:65], v156
	v_fma_f64 v[80:81], v[82:83], v[56:57], -v[66:67]
	ds_read_b128 v[66:69], v156 offset:2816
	v_mul_f64 v[82:83], v[82:83], v[58:59]
	v_fmac_f64_e32 v[82:83], v[84:85], v[56:57]
	s_waitcnt lgkmcnt(1)
	v_add_f64 v[100:101], v[62:63], -v[86:87]
	v_add_f64 v[102:103], v[64:65], -v[88:89]
	s_waitcnt lgkmcnt(0)
	v_add_f64 v[104:105], v[66:67], -v[90:91]
	v_add_f64 v[106:107], v[68:69], -v[92:93]
	v_fma_f64 v[96:97], v[62:63], 2.0, -v[100:101]
	v_fma_f64 v[98:99], v[64:65], 2.0, -v[102:103]
	ds_read_b128 v[62:65], v156 offset:5632
	v_fma_f64 v[108:109], v[66:67], 2.0, -v[104:105]
	v_fma_f64 v[110:111], v[68:69], 2.0, -v[106:107]
	ds_read_b128 v[66:69], v156 offset:8448
	v_add_f64 v[132:133], v[74:75], -v[80:81]
	s_waitcnt lgkmcnt(1)
	v_add_f64 v[116:117], v[62:63], -v[94:95]
	v_add_f64 v[118:119], v[64:65], -v[70:71]
	;; [unrolled: 1-line block ×3, first 2 shown]
	s_waitcnt lgkmcnt(0)
	v_add_f64 v[124:125], v[66:67], -v[72:73]
	v_add_f64 v[126:127], v[68:69], -v[78:79]
	s_barrier
	ds_write_b128 v157, v[96:99]
	ds_write_b128 v157, v[100:103] offset:256
	ds_write_b128 v1, v[108:111]
	ds_write_b128 v1, v[104:107] offset:256
	v_lshlrev_b32_e32 v1, 4, v3
	v_fma_f64 v[112:113], v[62:63], 2.0, -v[116:117]
	v_fma_f64 v[114:115], v[64:65], 2.0, -v[118:119]
	v_fma_f64 v[120:121], v[66:67], 2.0, -v[124:125]
	v_fma_f64 v[122:123], v[68:69], 2.0, -v[126:127]
	v_fma_f64 v[128:129], v[74:75], 2.0, -v[132:133]
	v_fma_f64 v[130:131], v[76:77], 2.0, -v[134:135]
	v_accvgpr_write_b32 a49, v1
	ds_write_b128 v1, v[112:115]
	ds_write_b128 v1, v[116:119] offset:256
	ds_write_b128 v161, v[120:123]
	ds_write_b128 v161, v[124:127] offset:256
	;; [unrolled: 2-line block ×3, first 2 shown]
	s_waitcnt lgkmcnt(0)
	s_barrier
	s_and_saveexec_b64 s[0:1], vcc
	s_cbranch_execz .LBB0_3
; %bb.2:
	ds_read_b128 v[96:99], v156
	ds_read_b128 v[100:103], v156 offset:2560
	ds_read_b128 v[108:111], v156 offset:5120
	;; [unrolled: 1-line block ×10, first 2 shown]
.LBB0_3:
	s_or_b64 exec, exec, s[0:1]
	v_and_b32_e32 v212, 31, v158
	v_mov_b64_e32 v[52:53], s[10:11]
	v_mad_u64_u32 v[72:73], s[0:1], v212, s12, v[52:53]
	global_load_dwordx4 v[52:55], v[72:73], off offset:480
	global_load_dwordx4 v[60:63], v[72:73], off offset:496
	;; [unrolled: 1-line block ×9, first 2 shown]
	s_nop 0
	global_load_dwordx4 v[72:75], v[72:73], off offset:624
	s_mov_b32 s20, 0xf8bb580b
	s_mov_b32 s0, 0x8764f0ba
	;; [unrolled: 1-line block ×20, first 2 shown]
	v_lshrrev_b32_e32 v228, 5, v158
	s_waitcnt lgkmcnt(0)
	s_barrier
	s_waitcnt vmcnt(9)
	v_mul_f64 v[142:143], v[100:101], v[54:55]
	v_mul_f64 v[162:163], v[102:103], v[54:55]
	s_waitcnt vmcnt(8)
	v_mul_f64 v[144:145], v[108:109], v[62:63]
	v_fmac_f64_e32 v[142:143], v[102:103], v[52:53]
	s_waitcnt vmcnt(5)
	v_mul_f64 v[150:151], v[116:117], v[94:95]
	v_mul_f64 v[166:167], v[110:111], v[62:63]
	s_waitcnt vmcnt(3)
	v_mul_f64 v[180:181], v[126:127], v[86:87]
	v_mul_f64 v[146:147], v[104:105], v[66:67]
	s_waitcnt vmcnt(1)
	v_mul_f64 v[168:169], v[132:133], v[82:83]
	s_waitcnt vmcnt(0)
	v_mul_f64 v[172:173], v[136:137], v[74:75]
	v_mul_f64 v[186:187], v[138:139], v[74:75]
	v_fmac_f64_e32 v[172:173], v[138:139], v[72:73]
	v_mul_f64 v[176:177], v[118:119], v[94:95]
	v_mul_f64 v[152:153], v[120:121], v[90:91]
	;; [unrolled: 1-line block ×5, first 2 shown]
	v_fma_f64 v[162:163], v[100:101], v[52:53], -v[162:163]
	v_fmac_f64_e32 v[144:145], v[110:111], v[60:61]
	v_fmac_f64_e32 v[150:151], v[118:119], v[92:93]
	v_fma_f64 v[118:119], v[124:125], v[84:85], -v[180:181]
	v_fmac_f64_e32 v[168:169], v[134:135], v[80:81]
	v_fma_f64 v[124:125], v[136:137], v[72:73], -v[186:187]
	v_add_f64 v[190:191], v[142:143], -v[172:173]
	v_mul_f64 v[170:171], v[106:107], v[66:67]
	v_mul_f64 v[174:175], v[114:115], v[70:71]
	v_mul_f64 v[148:149], v[112:113], v[70:71]
	v_mul_f64 v[178:179], v[122:123], v[90:91]
	v_mul_f64 v[182:183], v[130:131], v[78:79]
	v_fma_f64 v[166:167], v[108:109], v[60:61], -v[166:167]
	v_fmac_f64_e32 v[146:147], v[106:107], v[64:65]
	v_fmac_f64_e32 v[152:153], v[122:123], v[88:89]
	;; [unrolled: 1-line block ×4, first 2 shown]
	v_fma_f64 v[122:123], v[132:133], v[80:81], -v[184:185]
	v_add_f64 v[134:135], v[162:163], v[124:125]
	v_add_f64 v[180:181], v[162:163], -v[124:125]
	v_add_f64 v[192:193], v[144:145], -v[168:169]
	v_mul_f64 v[126:127], v[190:191], s[20:21]
	v_fma_f64 v[170:171], v[104:105], v[64:65], -v[170:171]
	v_fma_f64 v[112:113], v[112:113], v[68:69], -v[174:175]
	v_fmac_f64_e32 v[148:149], v[114:115], v[68:69]
	v_fma_f64 v[114:115], v[116:117], v[92:93], -v[176:177]
	v_fma_f64 v[116:117], v[120:121], v[88:89], -v[178:179]
	;; [unrolled: 1-line block ×3, first 2 shown]
	v_add_f64 v[200:201], v[142:143], v[172:173]
	v_add_f64 v[174:175], v[166:167], v[122:123]
	v_add_f64 v[182:183], v[166:167], -v[122:123]
	v_add_f64 v[196:197], v[146:147], -v[164:165]
	v_mul_f64 v[136:137], v[180:181], s[20:21]
	v_mul_f64 v[132:133], v[192:193], s[14:15]
	v_fma_f64 v[100:101], s[0:1], v[134:135], v[126:127]
	v_add_f64 v[204:205], v[144:145], v[168:169]
	v_add_f64 v[176:177], v[170:171], v[120:121]
	v_add_f64 v[186:187], v[170:171], -v[120:121]
	v_mul_f64 v[138:139], v[182:183], s[14:15]
	v_fma_f64 v[102:103], v[200:201], s[0:1], -v[136:137]
	v_fma_f64 v[104:105], s[12:13], v[174:175], v[132:133]
	v_add_f64 v[100:101], v[96:97], v[100:101]
	v_mul_f64 v[178:179], v[196:197], s[28:29]
	v_add_f64 v[208:209], v[146:147], v[164:165]
	v_fma_f64 v[106:107], v[204:205], s[12:13], -v[138:139]
	v_add_f64 v[102:103], v[98:99], v[102:103]
	v_add_f64 v[100:101], v[104:105], v[100:101]
	v_mul_f64 v[184:185], v[186:187], s[28:29]
	v_fma_f64 v[104:105], s[16:17], v[176:177], v[178:179]
	v_add_f64 v[226:227], v[148:149], -v[154:155]
	v_add_f64 v[102:103], v[106:107], v[102:103]
	v_add_f64 v[100:101], v[104:105], v[100:101]
	v_fma_f64 v[104:105], v[208:209], s[16:17], -v[184:185]
	v_add_f64 v[194:195], v[112:113], v[118:119]
	v_add_f64 v[206:207], v[112:113], -v[118:119]
	v_mul_f64 v[188:189], v[226:227], s[24:25]
	v_add_f64 v[102:103], v[104:105], v[102:103]
	v_add_f64 v[238:239], v[148:149], v[154:155]
	v_mul_f64 v[198:199], v[206:207], s[24:25]
	v_fma_f64 v[104:105], s[22:23], v[194:195], v[188:189]
	v_add_f64 v[240:241], v[150:151], -v[152:153]
	v_add_f64 v[100:101], v[104:105], v[100:101]
	v_fma_f64 v[104:105], v[238:239], s[22:23], -v[198:199]
	v_add_f64 v[210:211], v[114:115], v[116:117]
	v_add_f64 v[230:231], v[114:115], -v[116:117]
	v_mul_f64 v[202:203], v[240:241], s[30:31]
	v_add_f64 v[102:103], v[104:105], v[102:103]
	v_add_f64 v[242:243], v[150:151], v[152:153]
	v_mul_f64 v[214:215], v[230:231], s[30:31]
	v_fma_f64 v[104:105], s[26:27], v[210:211], v[202:203]
	v_add_f64 v[128:129], v[104:105], v[100:101]
	v_fma_f64 v[100:101], v[242:243], s[26:27], -v[214:215]
	v_add_f64 v[130:131], v[100:101], v[102:103]
	s_and_saveexec_b64 s[18:19], vcc
	s_cbranch_execz .LBB0_5
; %bb.4:
	v_accvgpr_write_b32 a16, v248
	v_accvgpr_write_b32 a12, v244
	v_accvgpr_write_b32 a17, v249
	v_accvgpr_write_b32 a18, v250
	v_accvgpr_write_b32 a19, v251
	v_mul_f64 v[248:249], v[200:201], s[26:27]
	s_mov_b32 s37, 0x3fd207e7
	s_mov_b32 s36, s30
	v_accvgpr_write_b32 a13, v245
	v_accvgpr_write_b32 a14, v246
	;; [unrolled: 1-line block ×3, first 2 shown]
	v_mul_f64 v[244:245], v[204:205], s[0:1]
	v_fma_f64 v[250:251], s[36:37], v[180:181], v[248:249]
	s_mov_b32 s39, 0x3fe14ced
	s_mov_b32 s38, s20
	v_mul_f64 v[4:5], v[190:191], s[30:31]
	v_mul_f64 v[108:109], v[208:209], s[22:23]
	s_mov_b32 s41, 0x3fe82f19
	s_mov_b32 s40, s24
	v_fma_f64 v[246:247], s[20:21], v[182:183], v[244:245]
	v_add_f64 v[250:251], v[98:99], v[250:251]
	v_accvgpr_write_b32 a20, v252
	v_mul_f64 v[0:1], v[192:193], s[38:39]
	v_fma_f64 v[6:7], s[26:27], v[134:135], v[4:5]
	v_mul_f64 v[106:107], v[238:239], s[12:13]
	v_fma_f64 v[110:111], s[40:41], v[186:187], v[108:109]
	v_add_f64 v[246:247], v[246:247], v[250:251]
	s_mov_b32 s43, 0x3fed1bb4
	s_mov_b32 s42, s14
	v_accvgpr_write_b32 a21, v253
	v_accvgpr_write_b32 a22, v254
	;; [unrolled: 1-line block ×3, first 2 shown]
	v_mul_f64 v[252:253], v[196:197], s[24:25]
	v_fma_f64 v[2:3], s[0:1], v[174:175], v[0:1]
	v_add_f64 v[6:7], v[96:97], v[6:7]
	v_mul_f64 v[104:105], v[242:243], s[16:17]
	s_mov_b32 s35, 0x3fefac9e
	s_mov_b32 s34, s28
	v_fma_f64 v[102:103], s[14:15], v[206:207], v[106:107]
	v_add_f64 v[110:111], v[110:111], v[246:247]
	v_mul_f64 v[246:247], v[226:227], s[42:43]
	v_fma_f64 v[254:255], s[22:23], v[176:177], v[252:253]
	v_add_f64 v[2:3], v[2:3], v[6:7]
	v_fma_f64 v[100:101], s[34:35], v[230:231], v[104:105]
	v_add_f64 v[102:103], v[102:103], v[110:111]
	v_mul_f64 v[110:111], v[240:241], s[28:29]
	v_fma_f64 v[250:251], s[12:13], v[194:195], v[246:247]
	v_add_f64 v[2:3], v[254:255], v[2:3]
	v_add_f64 v[102:103], v[100:101], v[102:103]
	v_fma_f64 v[100:101], s[16:17], v[210:211], v[110:111]
	v_add_f64 v[2:3], v[250:251], v[2:3]
	v_fmac_f64_e32 v[248:249], s[30:31], v[180:181]
	v_add_f64 v[100:101], v[100:101], v[2:3]
	v_fmac_f64_e32 v[244:245], s[38:39], v[182:183]
	v_add_f64 v[2:3], v[98:99], v[248:249]
	v_fmac_f64_e32 v[108:109], s[24:25], v[186:187]
	v_add_f64 v[2:3], v[244:245], v[2:3]
	v_fmac_f64_e32 v[106:107], s[42:43], v[206:207]
	v_add_f64 v[2:3], v[108:109], v[2:3]
	v_fma_f64 v[4:5], v[134:135], s[26:27], -v[4:5]
	v_fmac_f64_e32 v[104:105], s[28:29], v[230:231]
	v_add_f64 v[2:3], v[106:107], v[2:3]
	v_fma_f64 v[0:1], v[174:175], s[0:1], -v[0:1]
	v_add_f64 v[4:5], v[96:97], v[4:5]
	v_mul_f64 v[248:249], v[200:201], s[22:23]
	v_add_f64 v[106:107], v[104:105], v[2:3]
	v_fma_f64 v[6:7], v[194:195], s[12:13], -v[246:247]
	v_fma_f64 v[104:105], v[176:177], s[22:23], -v[252:253]
	v_add_f64 v[0:1], v[0:1], v[4:5]
	v_mul_f64 v[246:247], v[204:205], s[16:17]
	v_fma_f64 v[250:251], s[40:41], v[180:181], v[248:249]
	v_fma_f64 v[2:3], v[210:211], s[16:17], -v[110:111]
	v_add_f64 v[0:1], v[104:105], v[0:1]
	v_mul_f64 v[244:245], v[208:209], s[0:1]
	v_fma_f64 v[110:111], s[28:29], v[182:183], v[246:247]
	v_add_f64 v[250:251], v[98:99], v[250:251]
	v_mul_f64 v[12:13], v[190:191], s[24:25]
	v_add_f64 v[0:1], v[6:7], v[0:1]
	v_mul_f64 v[4:5], v[238:239], s[26:27]
	v_fma_f64 v[108:109], s[38:39], v[186:187], v[244:245]
	v_add_f64 v[110:111], v[110:111], v[250:251]
	v_mul_f64 v[8:9], v[192:193], s[34:35]
	v_fma_f64 v[14:15], s[22:23], v[134:135], v[12:13]
	;; [unrolled: 3-line block ×4, first 2 shown]
	v_add_f64 v[14:15], v[96:97], v[14:15]
	v_fma_f64 v[2:3], s[14:15], v[230:231], v[0:1]
	v_add_f64 v[6:7], v[6:7], v[108:109]
	v_mul_f64 v[250:251], v[226:227], s[30:31]
	v_fma_f64 v[254:255], s[0:1], v[176:177], v[252:253]
	v_add_f64 v[10:11], v[10:11], v[14:15]
	v_add_f64 v[110:111], v[2:3], v[6:7]
	v_mul_f64 v[2:3], v[240:241], s[42:43]
	v_fma_f64 v[108:109], s[26:27], v[194:195], v[250:251]
	v_add_f64 v[10:11], v[254:255], v[10:11]
	v_fma_f64 v[6:7], s[12:13], v[210:211], v[2:3]
	v_add_f64 v[10:11], v[108:109], v[10:11]
	v_fmac_f64_e32 v[248:249], s[24:25], v[180:181]
	v_add_f64 v[108:109], v[6:7], v[10:11]
	v_fmac_f64_e32 v[246:247], s[34:35], v[182:183]
	;; [unrolled: 2-line block ×5, first 2 shown]
	v_add_f64 v[4:5], v[4:5], v[6:7]
	v_fma_f64 v[6:7], v[174:175], s[16:17], -v[8:9]
	v_fma_f64 v[8:9], v[134:135], s[22:23], -v[12:13]
	v_add_f64 v[246:247], v[0:1], v[4:5]
	v_fma_f64 v[4:5], v[176:177], s[0:1], -v[252:253]
	v_add_f64 v[8:9], v[96:97], v[8:9]
	v_mul_f64 v[252:253], v[200:201], s[16:17]
	v_add_f64 v[6:7], v[6:7], v[8:9]
	v_mul_f64 v[12:13], v[204:205], s[26:27]
	v_fma_f64 v[248:249], s[34:35], v[180:181], v[252:253]
	v_fma_f64 v[0:1], v[210:211], s[12:13], -v[2:3]
	v_fma_f64 v[2:3], v[194:195], s[26:27], -v[250:251]
	v_add_f64 v[4:5], v[4:5], v[6:7]
	v_mul_f64 v[8:9], v[208:209], s[12:13]
	v_fma_f64 v[14:15], s[30:31], v[182:183], v[12:13]
	v_add_f64 v[248:249], v[98:99], v[248:249]
	v_mul_f64 v[24:25], v[190:191], s[28:29]
	v_add_f64 v[2:3], v[2:3], v[4:5]
	v_mul_f64 v[4:5], v[238:239], s[0:1]
	v_fma_f64 v[10:11], s[14:15], v[186:187], v[8:9]
	v_add_f64 v[14:15], v[14:15], v[248:249]
	v_mul_f64 v[20:21], v[192:193], s[36:37]
	v_fma_f64 v[26:27], s[16:17], v[134:135], v[24:25]
	v_add_f64 v[244:245], v[0:1], v[2:3]
	v_mul_f64 v[0:1], v[242:243], s[22:23]
	v_fma_f64 v[6:7], s[38:39], v[206:207], v[4:5]
	v_add_f64 v[10:11], v[10:11], v[14:15]
	v_mul_f64 v[16:17], v[196:197], s[42:43]
	v_fma_f64 v[22:23], s[26:27], v[174:175], v[20:21]
	v_add_f64 v[26:27], v[96:97], v[26:27]
	v_fma_f64 v[2:3], s[40:41], v[230:231], v[0:1]
	v_add_f64 v[6:7], v[6:7], v[10:11]
	v_mul_f64 v[10:11], v[226:227], s[20:21]
	v_fma_f64 v[18:19], s[12:13], v[176:177], v[16:17]
	v_add_f64 v[22:23], v[22:23], v[26:27]
	v_add_f64 v[250:251], v[2:3], v[6:7]
	v_mul_f64 v[2:3], v[240:241], s[24:25]
	v_fma_f64 v[14:15], s[0:1], v[194:195], v[10:11]
	v_add_f64 v[18:19], v[18:19], v[22:23]
	v_fma_f64 v[6:7], s[22:23], v[210:211], v[2:3]
	v_add_f64 v[14:15], v[14:15], v[18:19]
	v_fmac_f64_e32 v[252:253], s[28:29], v[180:181]
	v_add_f64 v[248:249], v[6:7], v[14:15]
	v_fmac_f64_e32 v[12:13], s[36:37], v[182:183]
	v_add_f64 v[6:7], v[98:99], v[252:253]
	v_fmac_f64_e32 v[8:9], s[42:43], v[186:187]
	v_add_f64 v[6:7], v[12:13], v[6:7]
	v_fmac_f64_e32 v[4:5], s[20:21], v[206:207]
	v_add_f64 v[6:7], v[8:9], v[6:7]
	v_fmac_f64_e32 v[0:1], s[24:25], v[230:231]
	v_add_f64 v[4:5], v[4:5], v[6:7]
	v_fma_f64 v[8:9], v[134:135], s[16:17], -v[24:25]
	v_add_f64 v[254:255], v[0:1], v[4:5]
	v_fma_f64 v[4:5], v[176:177], s[12:13], -v[16:17]
	v_fma_f64 v[6:7], v[174:175], s[26:27], -v[20:21]
	v_add_f64 v[8:9], v[96:97], v[8:9]
	v_mul_f64 v[16:17], v[200:201], s[12:13]
	v_add_f64 v[6:7], v[6:7], v[8:9]
	v_mul_f64 v[12:13], v[204:205], s[22:23]
	v_fma_f64 v[18:19], s[42:43], v[180:181], v[16:17]
	v_fma_f64 v[0:1], v[210:211], s[22:23], -v[2:3]
	v_fma_f64 v[2:3], v[194:195], s[0:1], -v[10:11]
	v_add_f64 v[4:5], v[4:5], v[6:7]
	v_mul_f64 v[8:9], v[208:209], s[26:27]
	v_fma_f64 v[14:15], s[40:41], v[182:183], v[12:13]
	v_add_f64 v[18:19], v[98:99], v[18:19]
	v_mul_f64 v[26:27], v[190:191], s[14:15]
	v_add_f64 v[2:3], v[2:3], v[4:5]
	v_mul_f64 v[4:5], v[238:239], s[16:17]
	v_fma_f64 v[10:11], s[30:31], v[186:187], v[8:9]
	v_add_f64 v[14:15], v[14:15], v[18:19]
	v_mul_f64 v[22:23], v[192:193], s[24:25]
	v_fma_f64 v[190:191], s[12:13], v[134:135], v[26:27]
	v_add_f64 v[252:253], v[0:1], v[2:3]
	v_mul_f64 v[0:1], v[242:243], s[0:1]
	v_fma_f64 v[6:7], s[28:29], v[206:207], v[4:5]
	v_add_f64 v[10:11], v[10:11], v[14:15]
	v_mul_f64 v[18:19], v[196:197], s[36:37]
	v_fma_f64 v[24:25], s[22:23], v[174:175], v[22:23]
	v_add_f64 v[190:191], v[96:97], v[190:191]
	v_fma_f64 v[2:3], s[20:21], v[230:231], v[0:1]
	v_add_f64 v[6:7], v[6:7], v[10:11]
	v_mul_f64 v[10:11], v[226:227], s[34:35]
	v_fma_f64 v[20:21], s[26:27], v[176:177], v[18:19]
	v_add_f64 v[24:25], v[24:25], v[190:191]
	v_accvgpr_write_b32 a33, v236
	v_accvgpr_write_b32 a34, v237
	v_mul_f64 v[236:237], v[242:243], s[26:27]
	v_add_f64 v[242:243], v[2:3], v[6:7]
	v_mul_f64 v[2:3], v[240:241], s[38:39]
	v_fma_f64 v[14:15], s[16:17], v[194:195], v[10:11]
	v_add_f64 v[20:21], v[20:21], v[24:25]
	v_fma_f64 v[6:7], s[0:1], v[210:211], v[2:3]
	v_add_f64 v[14:15], v[14:15], v[20:21]
	v_fmac_f64_e32 v[16:17], s[14:15], v[180:181]
	v_add_f64 v[240:241], v[6:7], v[14:15]
	v_fmac_f64_e32 v[12:13], s[24:25], v[182:183]
	;; [unrolled: 2-line block ×4, first 2 shown]
	v_add_f64 v[6:7], v[8:9], v[6:7]
	v_fma_f64 v[8:9], v[134:135], s[12:13], -v[26:27]
	v_accvgpr_write_b32 a29, v224
	v_accvgpr_write_b32 a30, v225
	v_mul_f64 v[224:225], v[200:201], s[0:1]
	v_fmac_f64_e32 v[0:1], s[38:39], v[230:231]
	v_add_f64 v[4:5], v[4:5], v[6:7]
	v_fma_f64 v[6:7], v[174:175], s[22:23], -v[22:23]
	v_add_f64 v[8:9], v[96:97], v[8:9]
	v_accvgpr_write_b32 a31, v228
	v_accvgpr_write_b32 a32, v229
	v_mul_f64 v[228:229], v[204:205], s[12:13]
	v_accvgpr_write_b32 a8, v232
	v_add_f64 v[182:183], v[0:1], v[4:5]
	v_fma_f64 v[4:5], v[176:177], s[26:27], -v[18:19]
	v_add_f64 v[6:7], v[6:7], v[8:9]
	v_add_f64 v[8:9], v[136:137], v[224:225]
	v_mov_b32_e32 v141, v212
	v_accvgpr_write_b32 a28, v213
	v_mul_f64 v[212:213], v[134:135], s[0:1]
	v_accvgpr_write_b32 a0, v216
	v_accvgpr_write_b32 a9, v233
	;; [unrolled: 1-line block ×4, first 2 shown]
	v_mul_f64 v[232:233], v[208:209], s[16:17]
	v_fma_f64 v[0:1], v[210:211], s[0:1], -v[2:3]
	v_fma_f64 v[2:3], v[194:195], s[16:17], -v[10:11]
	v_add_f64 v[4:5], v[4:5], v[6:7]
	v_add_f64 v[6:7], v[138:139], v[228:229]
	;; [unrolled: 1-line block ×3, first 2 shown]
	v_accvgpr_write_b32 a1, v217
	v_accvgpr_write_b32 a2, v218
	;; [unrolled: 1-line block ×3, first 2 shown]
	v_mul_f64 v[216:217], v[174:175], s[12:13]
	v_mul_f64 v[234:235], v[238:239], s[22:23]
	v_add_f64 v[2:3], v[2:3], v[4:5]
	v_add_f64 v[4:5], v[184:185], v[232:233]
	;; [unrolled: 1-line block ×3, first 2 shown]
	v_add_f64 v[8:9], v[212:213], -v[126:127]
	v_mul_f64 v[218:219], v[176:177], s[16:17]
	v_accvgpr_write_b32 a4, v220
	v_add_f64 v[180:181], v[0:1], v[2:3]
	v_add_f64 v[2:3], v[198:199], v[234:235]
	;; [unrolled: 1-line block ×3, first 2 shown]
	v_add_f64 v[6:7], v[216:217], -v[132:133]
	v_add_f64 v[8:9], v[96:97], v[8:9]
	v_accvgpr_write_b32 a5, v221
	v_accvgpr_write_b32 a6, v222
	;; [unrolled: 1-line block ×3, first 2 shown]
	v_mul_f64 v[220:221], v[194:195], s[22:23]
	v_add_f64 v[0:1], v[214:215], v[236:237]
	v_add_f64 v[2:3], v[2:3], v[4:5]
	v_add_f64 v[4:5], v[218:219], -v[178:179]
	v_add_f64 v[6:7], v[6:7], v[8:9]
	v_mul_f64 v[222:223], v[210:211], s[26:27]
	v_add_f64 v[134:135], v[0:1], v[2:3]
	v_add_f64 v[2:3], v[220:221], -v[188:189]
	v_add_f64 v[4:5], v[4:5], v[6:7]
	v_add_f64 v[0:1], v[222:223], -v[202:203]
	v_add_f64 v[2:3], v[2:3], v[4:5]
	v_add_f64 v[132:133], v[0:1], v[2:3]
	;; [unrolled: 1-line block ×20, first 2 shown]
	v_accvgpr_read_b32 v228, a31
	v_add_f64 v[0:1], v[0:1], v[122:123]
	v_mov_b32_e32 v212, v141
	v_add_f64 v[96:97], v[0:1], v[124:125]
	v_mul_u32_u24_e32 v0, 0x160, v228
	v_or_b32_e32 v0, v0, v212
	v_lshlrev_b32_e32 v0, 4, v0
	v_accvgpr_read_b32 v235, a11
	v_accvgpr_read_b32 v223, a7
	;; [unrolled: 1-line block ×3, first 2 shown]
	ds_write_b128 v0, v[96:99]
	ds_write_b128 v0, v[132:135] offset:512
	ds_write_b128 v0, v[180:183] offset:1024
	;; [unrolled: 1-line block ×3, first 2 shown]
	v_accvgpr_read_b32 v255, a23
	ds_write_b128 v0, v[244:247] offset:2048
	v_accvgpr_read_b32 v247, a15
	ds_write_b128 v0, v[104:107] offset:2560
	ds_write_b128 v0, v[100:103] offset:3072
	;; [unrolled: 1-line block ×4, first 2 shown]
	v_accvgpr_read_b32 v251, a19
	v_accvgpr_read_b32 v237, a34
	;; [unrolled: 1-line block ×25, first 2 shown]
	ds_write_b128 v0, v[240:243] offset:4608
	ds_write_b128 v0, v[128:131] offset:5120
.LBB0_5:
	s_or_b64 exec, exec, s[18:19]
	v_lshlrev_b32_e32 v0, 4, v158
	v_mov_b32_e32 v1, 0
	v_lshl_add_u64 v[144:145], s[8:9], 0, v[0:1]
	v_lshlrev_b32_e32 v0, 6, v158
	v_lshl_add_u64 v[2:3], s[10:11], 0, v[0:1]
	s_movk_i32 s12, 0x1000
	s_mov_b64 s[8:9], 0x15e0
	v_add_co_u32_e64 v4, s[0:1], s12, v2
	v_lshlrev_b32_e32 v0, 6, v140
	s_nop 0
	v_addc_co_u32_e64 v5, s[0:1], 0, v3, s[0:1]
	v_lshl_add_u64 v[2:3], v[2:3], 0, s[8:9]
	v_lshl_add_u64 v[0:1], s[10:11], 0, v[0:1]
	s_waitcnt lgkmcnt(0)
	s_barrier
	global_load_dwordx4 v[96:99], v[4:5], off offset:1504
	global_load_dwordx4 v[108:111], v[2:3], off offset:16
	;; [unrolled: 1-line block ×4, first 2 shown]
	v_add_co_u32_e64 v2, s[0:1], s12, v0
	s_mov_b32 s13, 0xbfee6f0e
	s_nop 0
	v_addc_co_u32_e64 v3, s[0:1], 0, v1, s[0:1]
	v_lshl_add_u64 v[0:1], v[0:1], 0, s[8:9]
	global_load_dwordx4 v[112:115], v[2:3], off offset:1504
	global_load_dwordx4 v[124:127], v[0:1], off offset:16
	;; [unrolled: 1-line block ×4, first 2 shown]
	ds_read_b128 v[136:139], v156
	ds_read_b128 v[132:135], v156 offset:2816
	ds_read_b128 v[140:143], v156 offset:5632
	ds_read_b128 v[146:149], v156 offset:8448
	ds_read_b128 v[150:153], v156 offset:11264
	ds_read_b128 v[162:165], v156 offset:14080
	ds_read_b128 v[166:169], v156 offset:16896
	ds_read_b128 v[170:173], v156 offset:19712
	ds_read_b128 v[174:177], v156 offset:22528
	ds_read_b128 v[178:181], v156 offset:25344
	s_mov_b32 s8, 0x134454ff
	s_mov_b32 s9, 0x3fee6f0e
	s_mov_b32 s0, 0x4755a5e
	s_mov_b32 s12, s8
	s_mov_b32 s1, 0x3fe2cf23
	s_mov_b32 s10, 0x372fe950
	s_mov_b32 s15, 0xbfe2cf23
	s_mov_b32 s14, s0
	s_mov_b32 s11, 0x3fd3c6ef
	s_waitcnt vmcnt(6) lgkmcnt(5)
	v_mul_f64 v[4:5], v[152:153], v[110:111]
	v_mul_f64 v[0:1], v[142:143], v[98:99]
	s_waitcnt vmcnt(5) lgkmcnt(3)
	v_mul_f64 v[8:9], v[168:169], v[106:107]
	v_mul_f64 v[2:3], v[140:141], v[98:99]
	s_waitcnt vmcnt(4) lgkmcnt(1)
	v_mul_f64 v[12:13], v[176:177], v[102:103]
	v_mul_f64 v[14:15], v[174:175], v[102:103]
	v_fma_f64 v[0:1], v[140:141], v[96:97], -v[0:1]
	v_fma_f64 v[4:5], v[150:151], v[108:109], -v[4:5]
	;; [unrolled: 1-line block ×3, first 2 shown]
	v_mul_f64 v[6:7], v[150:151], v[110:111]
	s_waitcnt vmcnt(0) lgkmcnt(0)
	v_mul_f64 v[140:141], v[180:181], v[118:119]
	v_mul_f64 v[10:11], v[166:167], v[106:107]
	v_fmac_f64_e32 v[2:3], v[142:143], v[96:97]
	v_fma_f64 v[12:13], v[174:175], v[100:101], -v[12:13]
	v_fmac_f64_e32 v[14:15], v[176:177], v[100:101]
	v_mul_f64 v[16:17], v[148:149], v[114:115]
	v_mul_f64 v[18:19], v[146:147], v[114:115]
	;; [unrolled: 1-line block ×3, first 2 shown]
	v_fma_f64 v[176:177], v[178:179], v[116:117], -v[140:141]
	v_add_f64 v[140:141], v[136:137], v[0:1]
	v_add_f64 v[142:143], v[4:5], v[8:9]
	v_fmac_f64_e32 v[6:7], v[152:153], v[108:109]
	v_fmac_f64_e32 v[10:11], v[168:169], v[104:105]
	v_mul_f64 v[22:23], v[162:163], v[126:127]
	v_fma_f64 v[16:17], v[146:147], v[112:113], -v[16:17]
	v_fmac_f64_e32 v[18:19], v[148:149], v[112:113]
	v_fma_f64 v[20:21], v[162:163], v[124:125], -v[20:21]
	v_add_f64 v[148:149], v[2:3], -v[14:15]
	v_add_f64 v[146:147], v[0:1], -v[4:5]
	;; [unrolled: 1-line block ×3, first 2 shown]
	v_add_f64 v[162:163], v[140:141], v[4:5]
	v_fma_f64 v[140:141], -0.5, v[142:143], v[136:137]
	v_add_f64 v[152:153], v[6:7], -v[10:11]
	v_add_f64 v[142:143], v[146:147], v[150:151]
	v_fma_f64 v[146:147], s[8:9], v[148:149], v[140:141]
	v_fmac_f64_e32 v[140:141], s[12:13], v[148:149]
	v_fmac_f64_e32 v[146:147], s[0:1], v[152:153]
	;; [unrolled: 1-line block ×5, first 2 shown]
	v_add_f64 v[142:143], v[0:1], v[12:13]
	v_fmac_f64_e32 v[136:137], -0.5, v[142:143]
	v_fmac_f64_e32 v[22:23], v[164:165], v[124:125]
	v_add_f64 v[150:151], v[162:163], v[8:9]
	v_fma_f64 v[162:163], s[12:13], v[152:153], v[136:137]
	v_add_f64 v[142:143], v[4:5], -v[0:1]
	v_add_f64 v[164:165], v[8:9], -v[12:13]
	v_fmac_f64_e32 v[136:137], s[8:9], v[152:153]
	v_fmac_f64_e32 v[162:163], s[0:1], v[148:149]
	v_add_f64 v[142:143], v[142:143], v[164:165]
	v_fmac_f64_e32 v[136:137], s[14:15], v[148:149]
	v_fmac_f64_e32 v[162:163], s[10:11], v[142:143]
	;; [unrolled: 1-line block ×3, first 2 shown]
	v_add_f64 v[142:143], v[138:139], v[2:3]
	v_add_f64 v[142:143], v[142:143], v[6:7]
	;; [unrolled: 1-line block ×5, first 2 shown]
	v_fma_f64 v[142:143], -0.5, v[142:143], v[138:139]
	v_add_f64 v[0:1], v[0:1], -v[12:13]
	v_add_f64 v[150:151], v[150:151], v[12:13]
	v_fma_f64 v[148:149], s[12:13], v[0:1], v[142:143]
	v_add_f64 v[4:5], v[4:5], -v[8:9]
	v_add_f64 v[8:9], v[2:3], -v[6:7]
	;; [unrolled: 1-line block ×3, first 2 shown]
	v_fmac_f64_e32 v[142:143], s[8:9], v[0:1]
	v_fmac_f64_e32 v[148:149], s[14:15], v[4:5]
	v_add_f64 v[8:9], v[8:9], v[12:13]
	v_fmac_f64_e32 v[142:143], s[0:1], v[4:5]
	v_fmac_f64_e32 v[148:149], s[10:11], v[8:9]
	;; [unrolled: 1-line block ×3, first 2 shown]
	v_add_f64 v[8:9], v[2:3], v[14:15]
	v_fmac_f64_e32 v[138:139], -0.5, v[8:9]
	v_fma_f64 v[164:165], s[8:9], v[4:5], v[138:139]
	v_fmac_f64_e32 v[138:139], s[12:13], v[4:5]
	v_mul_f64 v[24:25], v[172:173], v[122:123]
	v_fmac_f64_e32 v[164:165], s[14:15], v[0:1]
	v_fmac_f64_e32 v[138:139], s[0:1], v[0:1]
	v_add_f64 v[0:1], v[132:133], v[16:17]
	v_fma_f64 v[24:25], v[170:171], v[120:121], -v[24:25]
	v_add_f64 v[0:1], v[0:1], v[20:21]
	v_mul_f64 v[154:155], v[178:179], v[118:119]
	v_add_f64 v[0:1], v[0:1], v[24:25]
	v_mul_f64 v[26:27], v[170:171], v[122:123]
	v_fmac_f64_e32 v[154:155], v[180:181], v[116:117]
	v_add_f64 v[2:3], v[6:7], -v[2:3]
	v_add_f64 v[6:7], v[10:11], -v[14:15]
	v_add_f64 v[166:167], v[0:1], v[176:177]
	v_add_f64 v[0:1], v[20:21], v[24:25]
	v_fmac_f64_e32 v[26:27], v[172:173], v[120:121]
	v_add_f64 v[2:3], v[2:3], v[6:7]
	v_fma_f64 v[170:171], -0.5, v[0:1], v[132:133]
	v_add_f64 v[0:1], v[18:19], -v[154:155]
	v_fmac_f64_e32 v[164:165], s[10:11], v[2:3]
	v_fmac_f64_e32 v[138:139], s[10:11], v[2:3]
	v_fma_f64 v[174:175], s[8:9], v[0:1], v[170:171]
	v_add_f64 v[2:3], v[22:23], -v[26:27]
	v_add_f64 v[4:5], v[16:17], -v[20:21]
	;; [unrolled: 1-line block ×3, first 2 shown]
	v_fmac_f64_e32 v[170:171], s[12:13], v[0:1]
	v_fmac_f64_e32 v[174:175], s[0:1], v[2:3]
	v_add_f64 v[4:5], v[4:5], v[6:7]
	v_fmac_f64_e32 v[170:171], s[14:15], v[2:3]
	v_fmac_f64_e32 v[174:175], s[10:11], v[4:5]
	v_fmac_f64_e32 v[170:171], s[10:11], v[4:5]
	v_add_f64 v[4:5], v[16:17], v[176:177]
	v_fmac_f64_e32 v[132:133], -0.5, v[4:5]
	v_fma_f64 v[178:179], s[12:13], v[2:3], v[132:133]
	v_fmac_f64_e32 v[132:133], s[8:9], v[2:3]
	v_fmac_f64_e32 v[178:179], s[0:1], v[0:1]
	;; [unrolled: 1-line block ×3, first 2 shown]
	v_add_f64 v[0:1], v[134:135], v[18:19]
	v_add_f64 v[0:1], v[0:1], v[22:23]
	;; [unrolled: 1-line block ×3, first 2 shown]
	v_add_f64 v[4:5], v[20:21], -v[16:17]
	v_add_f64 v[6:7], v[24:25], -v[176:177]
	v_add_f64 v[168:169], v[0:1], v[154:155]
	v_add_f64 v[0:1], v[22:23], v[26:27]
	;; [unrolled: 1-line block ×3, first 2 shown]
	v_fma_f64 v[172:173], -0.5, v[0:1], v[134:135]
	v_add_f64 v[0:1], v[16:17], -v[176:177]
	v_fmac_f64_e32 v[178:179], s[10:11], v[4:5]
	v_fmac_f64_e32 v[132:133], s[10:11], v[4:5]
	v_fma_f64 v[176:177], s[12:13], v[0:1], v[172:173]
	v_add_f64 v[2:3], v[20:21], -v[24:25]
	v_add_f64 v[4:5], v[18:19], -v[22:23]
	;; [unrolled: 1-line block ×3, first 2 shown]
	v_fmac_f64_e32 v[172:173], s[8:9], v[0:1]
	v_fmac_f64_e32 v[176:177], s[14:15], v[2:3]
	v_add_f64 v[4:5], v[4:5], v[6:7]
	v_fmac_f64_e32 v[172:173], s[0:1], v[2:3]
	v_fmac_f64_e32 v[176:177], s[10:11], v[4:5]
	;; [unrolled: 1-line block ×3, first 2 shown]
	v_add_f64 v[4:5], v[18:19], v[154:155]
	v_fmac_f64_e32 v[134:135], -0.5, v[4:5]
	v_fma_f64 v[180:181], s[8:9], v[2:3], v[134:135]
	v_fmac_f64_e32 v[134:135], s[12:13], v[2:3]
	v_fmac_f64_e32 v[134:135], s[0:1], v[0:1]
	s_movk_i32 s0, 0x6000
	v_fmac_f64_e32 v[180:181], s[14:15], v[0:1]
	v_add_f64 v[4:5], v[22:23], -v[18:19]
	v_add_f64 v[6:7], v[26:27], -v[154:155]
	v_add_co_u32_e64 v0, s[0:1], s0, v144
	v_add_f64 v[4:5], v[4:5], v[6:7]
	s_nop 0
	v_addc_co_u32_e64 v1, s[0:1], 0, v145, s[0:1]
	v_fmac_f64_e32 v[134:135], s[10:11], v[4:5]
	s_mov_b32 s0, 0xa000
	v_fmac_f64_e32 v[180:181], s[10:11], v[4:5]
	ds_write_b128 v156, v[150:153]
	ds_write_b128 v156, v[146:149] offset:5632
	ds_write_b128 v156, v[162:165] offset:11264
	;; [unrolled: 1-line block ×9, first 2 shown]
	s_waitcnt lgkmcnt(0)
	s_barrier
	global_load_dwordx4 v[132:135], v[0:1], off offset:3584
	v_add_co_u32_e64 v0, s[0:1], s0, v144
	s_nop 1
	v_addc_co_u32_e64 v1, s[0:1], 0, v145, s[0:1]
	global_load_dwordx4 v[136:139], v[0:1], off offset:1280
	s_mov_b64 s[0:1], 0x6e00
	v_lshl_add_u64 v[0:1], v[144:145], 0, s[0:1]
	global_load_dwordx4 v[140:143], v[0:1], off offset:2816
	s_mov_b32 s0, 0xb000
	v_add_co_u32_e64 v0, s[0:1], s0, v144
	s_nop 1
	v_addc_co_u32_e64 v1, s[0:1], 0, v145, s[0:1]
	global_load_dwordx4 v[146:149], v[0:1], off
	s_mov_b32 s0, 0x8000
	v_add_co_u32_e64 v2, s[0:1], s0, v144
	s_nop 1
	v_addc_co_u32_e64 v3, s[0:1], 0, v145, s[0:1]
	global_load_dwordx4 v[150:153], v[2:3], off offset:1024
	global_load_dwordx4 v[162:165], v[0:1], off offset:2816
	;; [unrolled: 1-line block ×3, first 2 shown]
	s_mov_b32 s0, 0xc000
	v_add_co_u32_e64 v0, s[0:1], s0, v144
	s_nop 1
	v_addc_co_u32_e64 v1, s[0:1], 0, v145, s[0:1]
	s_mov_b32 s0, 0x9000
	global_load_dwordx4 v[170:173], v[0:1], off offset:1536
	v_add_co_u32_e64 v0, s[0:1], s0, v144
	s_nop 1
	v_addc_co_u32_e64 v1, s[0:1], 0, v145, s[0:1]
	s_mov_b32 s0, 0xd000
	global_load_dwordx4 v[174:177], v[0:1], off offset:2560
	v_add_co_u32_e64 v0, s[0:1], s0, v144
	s_nop 1
	v_addc_co_u32_e64 v1, s[0:1], 0, v145, s[0:1]
	global_load_dwordx4 v[178:181], v[0:1], off offset:256
	ds_read_b128 v[182:185], v156
	ds_read_b128 v[186:189], v156 offset:2816
	ds_read_b128 v[194:197], v156 offset:14080
	s_waitcnt vmcnt(9) lgkmcnt(2)
	v_mul_f64 v[0:1], v[184:185], v[134:135]
	v_mul_f64 v[192:193], v[182:183], v[134:135]
	v_fma_f64 v[190:191], v[182:183], v[132:133], -v[0:1]
	v_fmac_f64_e32 v[192:193], v[184:185], v[132:133]
	ds_read_b128 v[132:135], v156 offset:11264
	ds_write_b128 v156, v[190:193]
	s_waitcnt vmcnt(8) lgkmcnt(2)
	v_mul_f64 v[0:1], v[196:197], v[138:139]
	v_mul_f64 v[184:185], v[194:195], v[138:139]
	v_fma_f64 v[182:183], v[194:195], v[136:137], -v[0:1]
	v_fmac_f64_e32 v[184:185], v[196:197], v[136:137]
	ds_write_b128 v156, v[182:185] offset:14080
	ds_read_b128 v[182:185], v156 offset:16896
	s_waitcnt vmcnt(7)
	v_mul_f64 v[0:1], v[188:189], v[142:143]
	v_mul_f64 v[138:139], v[186:187], v[142:143]
	v_fma_f64 v[136:137], v[186:187], v[140:141], -v[0:1]
	v_fmac_f64_e32 v[138:139], v[188:189], v[140:141]
	ds_read_b128 v[186:189], v156 offset:5632
	ds_write_b128 v156, v[136:139] offset:2816
	ds_read_b128 v[136:139], v156 offset:19712
	s_waitcnt vmcnt(6) lgkmcnt(3)
	v_mul_f64 v[0:1], v[184:185], v[148:149]
	v_mul_f64 v[142:143], v[182:183], v[148:149]
	v_fma_f64 v[140:141], v[182:183], v[146:147], -v[0:1]
	v_fmac_f64_e32 v[142:143], v[184:185], v[146:147]
	ds_write_b128 v156, v[140:143] offset:16896
	ds_read_b128 v[140:143], v156 offset:8448
	s_waitcnt vmcnt(5) lgkmcnt(4)
	v_mul_f64 v[0:1], v[188:189], v[152:153]
	v_mul_f64 v[146:147], v[186:187], v[152:153]
	v_fma_f64 v[144:145], v[186:187], v[150:151], -v[0:1]
	v_fmac_f64_e32 v[146:147], v[188:189], v[150:151]
	ds_write_b128 v156, v[144:147] offset:5632
	s_waitcnt vmcnt(4) lgkmcnt(3)
	v_mul_f64 v[0:1], v[138:139], v[164:165]
	v_mul_f64 v[146:147], v[136:137], v[164:165]
	v_fma_f64 v[144:145], v[136:137], v[162:163], -v[0:1]
	v_fmac_f64_e32 v[146:147], v[138:139], v[162:163]
	ds_write_b128 v156, v[144:147] offset:19712
	ds_read_b128 v[144:147], v156 offset:22528
	s_waitcnt vmcnt(3) lgkmcnt(3)
	v_mul_f64 v[0:1], v[142:143], v[168:169]
	v_mul_f64 v[138:139], v[140:141], v[168:169]
	v_fma_f64 v[136:137], v[140:141], v[166:167], -v[0:1]
	v_fmac_f64_e32 v[138:139], v[142:143], v[166:167]
	ds_write_b128 v156, v[136:139] offset:8448
	ds_read_b128 v[136:139], v156 offset:25344
	s_waitcnt vmcnt(2) lgkmcnt(2)
	v_mul_f64 v[0:1], v[146:147], v[172:173]
	v_mul_f64 v[142:143], v[144:145], v[172:173]
	v_fma_f64 v[140:141], v[144:145], v[170:171], -v[0:1]
	v_fmac_f64_e32 v[142:143], v[146:147], v[170:171]
	ds_write_b128 v156, v[140:143] offset:22528
	s_waitcnt vmcnt(1)
	v_mul_f64 v[0:1], v[134:135], v[176:177]
	v_mul_f64 v[142:143], v[132:133], v[176:177]
	v_fma_f64 v[140:141], v[132:133], v[174:175], -v[0:1]
	v_fmac_f64_e32 v[142:143], v[134:135], v[174:175]
	s_waitcnt vmcnt(0) lgkmcnt(1)
	v_mul_f64 v[0:1], v[138:139], v[180:181]
	v_mul_f64 v[134:135], v[136:137], v[180:181]
	v_fma_f64 v[132:133], v[136:137], v[178:179], -v[0:1]
	v_fmac_f64_e32 v[134:135], v[138:139], v[178:179]
	ds_write_b128 v156, v[140:143] offset:11264
	ds_write_b128 v156, v[132:135] offset:25344
	s_waitcnt lgkmcnt(0)
	s_barrier
	ds_read_b128 v[132:135], v156 offset:14080
	ds_read_b128 v[136:139], v156
	ds_read_b128 v[140:143], v156 offset:2816
	ds_read_b128 v[144:147], v156 offset:16896
	;; [unrolled: 1-line block ×8, first 2 shown]
	s_waitcnt lgkmcnt(8)
	v_add_f64 v[132:133], v[136:137], -v[132:133]
	v_add_f64 v[134:135], v[138:139], -v[134:135]
	s_waitcnt lgkmcnt(6)
	v_add_f64 v[144:145], v[140:141], -v[144:145]
	v_add_f64 v[146:147], v[142:143], -v[146:147]
	;; [unrolled: 3-line block ×5, first 2 shown]
	v_fma_f64 v[136:137], v[136:137], 2.0, -v[132:133]
	v_fma_f64 v[138:139], v[138:139], 2.0, -v[134:135]
	;; [unrolled: 1-line block ×10, first 2 shown]
	s_barrier
	ds_write_b128 v213, v[136:139]
	ds_write_b128 v213, v[132:135] offset:16
	ds_write_b128 v224, v[140:143]
	ds_write_b128 v224, v[144:147] offset:16
	;; [unrolled: 2-line block ×5, first 2 shown]
	s_waitcnt lgkmcnt(0)
	s_barrier
	ds_read_b128 v[132:135], v156 offset:14080
	ds_read_b128 v[136:139], v156
	ds_read_b128 v[140:143], v156 offset:2816
	ds_read_b128 v[144:147], v156 offset:16896
	;; [unrolled: 1-line block ×8, first 2 shown]
	s_waitcnt lgkmcnt(9)
	v_mul_f64 v[0:1], v[42:43], v[134:135]
	v_mul_f64 v[2:3], v[42:43], v[132:133]
	v_fmac_f64_e32 v[0:1], v[40:41], v[132:133]
	v_fma_f64 v[2:3], v[40:41], v[134:135], -v[2:3]
	s_waitcnt lgkmcnt(6)
	v_mul_f64 v[4:5], v[42:43], v[146:147]
	v_mul_f64 v[6:7], v[42:43], v[144:145]
	s_waitcnt lgkmcnt(5)
	v_mul_f64 v[8:9], v[42:43], v[150:151]
	v_mul_f64 v[10:11], v[42:43], v[148:149]
	;; [unrolled: 3-line block ×4, first 2 shown]
	v_fmac_f64_e32 v[4:5], v[40:41], v[144:145]
	v_fma_f64 v[6:7], v[40:41], v[146:147], -v[6:7]
	v_fmac_f64_e32 v[8:9], v[40:41], v[148:149]
	v_fma_f64 v[10:11], v[40:41], v[150:151], -v[10:11]
	;; [unrolled: 2-line block ×4, first 2 shown]
	v_add_f64 v[40:41], v[136:137], -v[0:1]
	v_add_f64 v[42:43], v[138:139], -v[2:3]
	v_fma_f64 v[132:133], v[136:137], 2.0, -v[40:41]
	v_fma_f64 v[134:135], v[138:139], 2.0, -v[42:43]
	v_add_f64 v[136:137], v[140:141], -v[4:5]
	v_add_f64 v[138:139], v[142:143], -v[6:7]
	v_fma_f64 v[140:141], v[140:141], 2.0, -v[136:137]
	v_fma_f64 v[142:143], v[142:143], 2.0, -v[138:139]
	v_add_f64 v[144:145], v[152:153], -v[8:9]
	v_add_f64 v[146:147], v[154:155], -v[10:11]
	v_accvgpr_read_b32 v0, a35
	v_fma_f64 v[148:149], v[152:153], 2.0, -v[144:145]
	v_fma_f64 v[150:151], v[154:155], 2.0, -v[146:147]
	v_add_f64 v[152:153], v[162:163], -v[12:13]
	v_add_f64 v[154:155], v[164:165], -v[14:15]
	s_barrier
	ds_write_b128 v237, v[132:135]
	ds_write_b128 v237, v[40:43] offset:32
	ds_write_b128 v0, v[140:143]
	ds_write_b128 v0, v[136:139] offset:32
	v_accvgpr_read_b32 v0, a36
	v_fma_f64 v[162:163], v[162:163], 2.0, -v[152:153]
	v_fma_f64 v[164:165], v[164:165], 2.0, -v[154:155]
	v_add_f64 v[170:171], v[166:167], -v[16:17]
	v_add_f64 v[172:173], v[168:169], -v[18:19]
	ds_write_b128 v0, v[148:151]
	ds_write_b128 v0, v[144:147] offset:32
	v_accvgpr_read_b32 v0, a37
	v_fma_f64 v[166:167], v[166:167], 2.0, -v[170:171]
	v_fma_f64 v[168:169], v[168:169], 2.0, -v[172:173]
	ds_write_b128 v0, v[162:165]
	ds_write_b128 v0, v[152:155] offset:32
	v_accvgpr_read_b32 v0, a38
	ds_write_b128 v0, v[166:169]
	ds_write_b128 v0, v[170:173] offset:32
	s_waitcnt lgkmcnt(0)
	s_barrier
	ds_read_b128 v[40:43], v156 offset:14080
	ds_read_b128 v[132:135], v156
	ds_read_b128 v[136:139], v156 offset:2816
	ds_read_b128 v[140:143], v156 offset:16896
	;; [unrolled: 1-line block ×8, first 2 shown]
	s_waitcnt lgkmcnt(9)
	v_mul_f64 v[0:1], v[46:47], v[42:43]
	v_mul_f64 v[2:3], v[46:47], v[40:41]
	v_fmac_f64_e32 v[0:1], v[44:45], v[40:41]
	v_fma_f64 v[2:3], v[44:45], v[42:43], -v[2:3]
	s_waitcnt lgkmcnt(6)
	v_mul_f64 v[4:5], v[46:47], v[142:143]
	v_mul_f64 v[6:7], v[46:47], v[140:141]
	v_fmac_f64_e32 v[4:5], v[44:45], v[140:141]
	v_fma_f64 v[6:7], v[44:45], v[142:143], -v[6:7]
	s_waitcnt lgkmcnt(5)
	v_mul_f64 v[8:9], v[46:47], v[146:147]
	v_mul_f64 v[10:11], v[46:47], v[144:145]
	s_waitcnt lgkmcnt(1)
	v_mul_f64 v[12:13], v[46:47], v[168:169]
	v_mul_f64 v[14:15], v[46:47], v[166:167]
	;; [unrolled: 3-line block ×3, first 2 shown]
	v_add_f64 v[40:41], v[132:133], -v[0:1]
	v_add_f64 v[42:43], v[134:135], -v[2:3]
	v_fmac_f64_e32 v[8:9], v[44:45], v[144:145]
	v_fma_f64 v[10:11], v[44:45], v[146:147], -v[10:11]
	v_fmac_f64_e32 v[12:13], v[44:45], v[166:167]
	v_fma_f64 v[14:15], v[44:45], v[168:169], -v[14:15]
	;; [unrolled: 2-line block ×3, first 2 shown]
	v_fma_f64 v[44:45], v[132:133], 2.0, -v[40:41]
	v_fma_f64 v[46:47], v[134:135], 2.0, -v[42:43]
	v_add_f64 v[132:133], v[136:137], -v[4:5]
	v_add_f64 v[134:135], v[138:139], -v[6:7]
	v_accvgpr_read_b32 v0, a39
	v_fma_f64 v[136:137], v[136:137], 2.0, -v[132:133]
	v_fma_f64 v[138:139], v[138:139], 2.0, -v[134:135]
	v_add_f64 v[140:141], v[148:149], -v[8:9]
	v_add_f64 v[142:143], v[150:151], -v[10:11]
	s_barrier
	ds_write_b128 v0, v[44:47]
	ds_write_b128 v0, v[40:43] offset:64
	v_accvgpr_read_b32 v0, a40
	v_fma_f64 v[144:145], v[148:149], 2.0, -v[140:141]
	v_fma_f64 v[146:147], v[150:151], 2.0, -v[142:143]
	v_add_f64 v[148:149], v[152:153], -v[12:13]
	v_add_f64 v[150:151], v[154:155], -v[14:15]
	ds_write_b128 v0, v[136:139]
	ds_write_b128 v0, v[132:135] offset:64
	v_accvgpr_read_b32 v0, a41
	v_fma_f64 v[152:153], v[152:153], 2.0, -v[148:149]
	v_fma_f64 v[154:155], v[154:155], 2.0, -v[150:151]
	v_add_f64 v[166:167], v[162:163], -v[16:17]
	v_add_f64 v[168:169], v[164:165], -v[18:19]
	ds_write_b128 v0, v[144:147]
	ds_write_b128 v0, v[140:143] offset:64
	v_accvgpr_read_b32 v0, a42
	v_fma_f64 v[162:163], v[162:163], 2.0, -v[166:167]
	v_fma_f64 v[164:165], v[164:165], 2.0, -v[168:169]
	ds_write_b128 v0, v[152:155]
	ds_write_b128 v0, v[148:151] offset:64
	v_accvgpr_read_b32 v0, a43
	ds_write_b128 v0, v[162:165]
	ds_write_b128 v0, v[166:169] offset:64
	s_waitcnt lgkmcnt(0)
	s_barrier
	ds_read_b128 v[40:43], v156 offset:14080
	ds_read_b128 v[44:47], v156
	ds_read_b128 v[132:135], v156 offset:2816
	ds_read_b128 v[136:139], v156 offset:16896
	ds_read_b128 v[140:143], v156 offset:19712
	ds_read_b128 v[144:147], v156 offset:5632
	ds_read_b128 v[148:151], v156 offset:8448
	ds_read_b128 v[152:155], v156 offset:11264
	ds_read_b128 v[162:165], v156 offset:22528
	ds_read_b128 v[166:169], v156 offset:25344
	s_waitcnt lgkmcnt(9)
	v_mul_f64 v[0:1], v[50:51], v[42:43]
	v_mul_f64 v[2:3], v[50:51], v[40:41]
	v_fmac_f64_e32 v[0:1], v[48:49], v[40:41]
	v_fma_f64 v[2:3], v[48:49], v[42:43], -v[2:3]
	s_waitcnt lgkmcnt(6)
	v_mul_f64 v[4:5], v[50:51], v[138:139]
	v_mul_f64 v[6:7], v[50:51], v[136:137]
	v_fmac_f64_e32 v[4:5], v[48:49], v[136:137]
	v_fma_f64 v[6:7], v[48:49], v[138:139], -v[6:7]
	s_waitcnt lgkmcnt(5)
	v_mul_f64 v[8:9], v[50:51], v[142:143]
	v_mul_f64 v[10:11], v[50:51], v[140:141]
	s_waitcnt lgkmcnt(1)
	v_mul_f64 v[12:13], v[50:51], v[164:165]
	v_mul_f64 v[14:15], v[50:51], v[162:163]
	;; [unrolled: 3-line block ×3, first 2 shown]
	v_add_f64 v[40:41], v[44:45], -v[0:1]
	v_add_f64 v[42:43], v[46:47], -v[2:3]
	v_fmac_f64_e32 v[8:9], v[48:49], v[140:141]
	v_fma_f64 v[10:11], v[48:49], v[142:143], -v[10:11]
	v_fmac_f64_e32 v[12:13], v[48:49], v[162:163]
	v_fma_f64 v[14:15], v[48:49], v[164:165], -v[14:15]
	;; [unrolled: 2-line block ×3, first 2 shown]
	v_fma_f64 v[44:45], v[44:45], 2.0, -v[40:41]
	v_fma_f64 v[46:47], v[46:47], 2.0, -v[42:43]
	v_add_f64 v[48:49], v[132:133], -v[4:5]
	v_add_f64 v[50:51], v[134:135], -v[6:7]
	v_accvgpr_read_b32 v0, a44
	v_fma_f64 v[132:133], v[132:133], 2.0, -v[48:49]
	v_fma_f64 v[134:135], v[134:135], 2.0, -v[50:51]
	v_add_f64 v[136:137], v[144:145], -v[8:9]
	v_add_f64 v[138:139], v[146:147], -v[10:11]
	s_barrier
	ds_write_b128 v0, v[44:47]
	ds_write_b128 v0, v[40:43] offset:128
	v_accvgpr_read_b32 v0, a45
	v_fma_f64 v[140:141], v[144:145], 2.0, -v[136:137]
	v_fma_f64 v[142:143], v[146:147], 2.0, -v[138:139]
	v_add_f64 v[144:145], v[148:149], -v[12:13]
	v_add_f64 v[146:147], v[150:151], -v[14:15]
	ds_write_b128 v0, v[132:135]
	ds_write_b128 v0, v[48:51] offset:128
	v_accvgpr_read_b32 v0, a46
	v_fma_f64 v[148:149], v[148:149], 2.0, -v[144:145]
	v_fma_f64 v[150:151], v[150:151], 2.0, -v[146:147]
	v_add_f64 v[162:163], v[152:153], -v[16:17]
	v_add_f64 v[164:165], v[154:155], -v[18:19]
	ds_write_b128 v0, v[140:143]
	ds_write_b128 v0, v[136:139] offset:128
	v_accvgpr_read_b32 v0, a47
	v_fma_f64 v[152:153], v[152:153], 2.0, -v[162:163]
	v_fma_f64 v[154:155], v[154:155], 2.0, -v[164:165]
	ds_write_b128 v0, v[148:151]
	ds_write_b128 v0, v[144:147] offset:128
	v_accvgpr_read_b32 v0, a48
	ds_write_b128 v0, v[152:155]
	ds_write_b128 v0, v[162:165] offset:128
	s_waitcnt lgkmcnt(0)
	s_barrier
	ds_read_b128 v[40:43], v156 offset:14080
	ds_read_b128 v[48:51], v156
	ds_read_b128 v[132:135], v156 offset:2816
	ds_read_b128 v[44:47], v156 offset:16896
	ds_read_b128 v[136:139], v156 offset:19712
	ds_read_b128 v[144:147], v156 offset:5632
	ds_read_b128 v[148:151], v156 offset:8448
	ds_read_b128 v[162:165], v156 offset:11264
	ds_read_b128 v[140:143], v156 offset:22528
	ds_read_b128 v[152:155], v156 offset:25344
	s_waitcnt lgkmcnt(9)
	v_mul_f64 v[0:1], v[58:59], v[42:43]
	v_mul_f64 v[2:3], v[58:59], v[40:41]
	s_waitcnt lgkmcnt(6)
	v_mul_f64 v[4:5], v[58:59], v[46:47]
	v_mul_f64 v[6:7], v[58:59], v[44:45]
	;; [unrolled: 3-line block ×3, first 2 shown]
	v_fmac_f64_e32 v[0:1], v[56:57], v[40:41]
	v_fma_f64 v[2:3], v[56:57], v[42:43], -v[2:3]
	v_fmac_f64_e32 v[4:5], v[56:57], v[44:45]
	v_fma_f64 v[6:7], v[56:57], v[46:47], -v[6:7]
	;; [unrolled: 2-line block ×3, first 2 shown]
	s_waitcnt lgkmcnt(1)
	v_mul_f64 v[12:13], v[58:59], v[142:143]
	v_mul_f64 v[14:15], v[58:59], v[140:141]
	s_waitcnt lgkmcnt(0)
	v_mul_f64 v[16:17], v[58:59], v[154:155]
	v_mul_f64 v[18:19], v[58:59], v[152:153]
	v_fmac_f64_e32 v[12:13], v[56:57], v[140:141]
	v_fma_f64 v[14:15], v[56:57], v[142:143], -v[14:15]
	v_fmac_f64_e32 v[16:17], v[56:57], v[152:153]
	v_fma_f64 v[18:19], v[56:57], v[154:155], -v[18:19]
	v_add_f64 v[44:45], v[48:49], -v[0:1]
	v_add_f64 v[46:47], v[50:51], -v[2:3]
	;; [unrolled: 1-line block ×6, first 2 shown]
	v_fma_f64 v[40:41], v[48:49], 2.0, -v[44:45]
	v_fma_f64 v[42:43], v[50:51], 2.0, -v[46:47]
	;; [unrolled: 1-line block ×6, first 2 shown]
	v_add_f64 v[144:145], v[148:149], -v[12:13]
	v_add_f64 v[146:147], v[150:151], -v[14:15]
	;; [unrolled: 1-line block ×4, first 2 shown]
	v_accvgpr_read_b32 v0, a50
	v_fma_f64 v[152:153], v[148:149], 2.0, -v[144:145]
	v_fma_f64 v[154:155], v[150:151], 2.0, -v[146:147]
	;; [unrolled: 1-line block ×4, first 2 shown]
	s_barrier
	ds_write_b128 v157, v[40:43]
	ds_write_b128 v157, v[44:47] offset:256
	ds_write_b128 v0, v[48:51]
	ds_write_b128 v0, v[56:59] offset:256
	v_accvgpr_read_b32 v0, a49
	ds_write_b128 v0, v[132:135]
	ds_write_b128 v0, v[140:143] offset:256
	ds_write_b128 v161, v[152:155]
	ds_write_b128 v161, v[144:147] offset:256
	;; [unrolled: 2-line block ×3, first 2 shown]
	s_waitcnt lgkmcnt(0)
	s_barrier
	s_and_saveexec_b64 s[0:1], vcc
	s_cbranch_execz .LBB0_7
; %bb.6:
	ds_read_b128 v[40:43], v156
	ds_read_b128 v[44:47], v156 offset:2560
	ds_read_b128 v[48:51], v156 offset:5120
	;; [unrolled: 1-line block ×10, first 2 shown]
.LBB0_7:
	s_or_b64 exec, exec, s[0:1]
	s_waitcnt lgkmcnt(0)
	s_barrier
	s_and_saveexec_b64 s[0:1], vcc
	s_cbranch_execz .LBB0_9
; %bb.8:
	v_mul_f64 v[162:163], v[94:95], v[142:143]
	v_mul_f64 v[2:3], v[94:95], v[140:141]
	v_fmac_f64_e32 v[162:163], v[92:93], v[140:141]
	v_mul_f64 v[164:165], v[90:91], v[154:155]
	v_fma_f64 v[92:93], v[92:93], v[142:143], -v[2:3]
	v_mul_f64 v[2:3], v[90:91], v[152:153]
	v_fmac_f64_e32 v[164:165], v[88:89], v[152:153]
	v_fma_f64 v[94:95], v[88:89], v[154:155], -v[2:3]
	v_mul_f64 v[88:89], v[70:71], v[134:135]
	v_mul_f64 v[6:7], v[70:71], v[132:133]
	;; [unrolled: 1-line block ×3, first 2 shown]
	v_fmac_f64_e32 v[88:89], v[68:69], v[132:133]
	v_mul_f64 v[90:91], v[86:87], v[146:147]
	v_fma_f64 v[132:133], v[68:69], v[134:135], -v[6:7]
	v_mul_f64 v[6:7], v[86:87], v[144:145]
	v_mul_f64 v[68:69], v[78:79], v[150:151]
	v_fma_f64 v[86:87], v[64:65], v[58:59], -v[10:11]
	v_mul_f64 v[10:11], v[78:79], v[148:149]
	v_fmac_f64_e32 v[90:91], v[84:85], v[144:145]
	v_fma_f64 v[70:71], v[84:85], v[146:147], -v[6:7]
	v_mul_f64 v[84:85], v[66:67], v[58:59]
	v_fmac_f64_e32 v[68:69], v[76:77], v[148:149]
	v_fma_f64 v[66:67], v[76:77], v[150:151], -v[10:11]
	v_mul_f64 v[76:77], v[62:63], v[50:51]
	v_mul_f64 v[14:15], v[62:63], v[48:49]
	v_fmac_f64_e32 v[84:85], v[64:65], v[56:57]
	v_fmac_f64_e32 v[76:77], v[60:61], v[48:49]
	v_mul_f64 v[64:65], v[82:83], v[138:139]
	v_fma_f64 v[142:143], v[60:61], v[50:51], -v[14:15]
	v_mul_f64 v[14:15], v[82:83], v[136:137]
	v_mul_f64 v[78:79], v[54:55], v[46:47]
	;; [unrolled: 1-line block ×4, first 2 shown]
	v_fmac_f64_e32 v[64:65], v[80:81], v[136:137]
	v_fma_f64 v[62:63], v[80:81], v[138:139], -v[14:15]
	v_fmac_f64_e32 v[78:79], v[52:53], v[44:45]
	v_fmac_f64_e32 v[60:61], v[72:73], v[128:129]
	s_mov_b32 s24, 0xfd768dbf
	v_fma_f64 v[80:81], v[52:53], v[46:47], -v[18:19]
	v_mul_f64 v[18:19], v[74:75], v[128:129]
	s_mov_b32 s26, 0xf8bb580b
	v_add_f64 v[154:155], v[78:79], -v[60:61]
	s_mov_b32 s25, 0xbfd207e7
	v_fma_f64 v[72:73], v[72:73], v[130:131], -v[18:19]
	s_mov_b32 s22, 0x9bcd5057
	s_mov_b32 s20, 0xbb3a28a1
	v_add_f64 v[148:149], v[76:77], -v[64:65]
	s_mov_b32 s27, 0x3fe14ced
	s_mov_b32 s18, 0x8764f0ba
	v_mul_f64 v[16:17], v[154:155], s[24:25]
	v_add_f64 v[74:75], v[80:81], v[72:73]
	s_mov_b32 s23, 0xbfeeb42a
	v_add_f64 v[146:147], v[84:85], -v[68:69]
	s_mov_b32 s21, 0xbfe82f19
	s_mov_b32 s16, 0x7f775887
	v_mul_f64 v[12:13], v[148:149], s[26:27]
	v_add_f64 v[82:83], v[142:143], v[62:63]
	s_mov_b32 s19, 0x3feaeb8c
	v_fma_f64 v[18:19], s[22:23], v[74:75], v[16:17]
	v_add_f64 v[176:177], v[80:81], -v[72:73]
	s_mov_b32 s10, 0x43842ef
	v_add_f64 v[152:153], v[88:89], -v[90:91]
	s_mov_b32 s15, 0x3fed1bb4
	s_mov_b32 s14, 0x8eee2c13
	;; [unrolled: 1-line block ×3, first 2 shown]
	v_mul_f64 v[8:9], v[146:147], s[20:21]
	v_add_f64 v[144:145], v[86:87], v[66:67]
	s_mov_b32 s17, 0xbfe4f49e
	v_fma_f64 v[14:15], s[18:19], v[82:83], v[12:13]
	v_add_f64 v[18:19], v[42:43], v[18:19]
	v_add_f64 v[174:175], v[142:143], -v[62:63]
	v_add_f64 v[150:151], v[78:79], v[60:61]
	v_mul_f64 v[26:27], v[176:177], s[24:25]
	v_add_f64 v[166:167], v[162:163], -v[164:165]
	s_mov_b32 s11, 0xbfefac9e
	s_mov_b32 s8, 0x640f44db
	v_mul_f64 v[4:5], v[152:153], s[14:15]
	v_add_f64 v[134:135], v[132:133], v[70:71]
	s_mov_b32 s13, 0x3fda9628
	v_fma_f64 v[10:11], s[16:17], v[144:145], v[8:9]
	v_add_f64 v[14:15], v[14:15], v[18:19]
	v_add_f64 v[172:173], v[86:87], -v[66:67]
	v_add_f64 v[138:139], v[76:77], v[64:65]
	v_mul_f64 v[22:23], v[174:175], s[26:27]
	v_fma_f64 v[44:45], v[150:151], s[22:23], -v[26:27]
	v_mul_f64 v[0:1], v[166:167], s[10:11]
	v_add_f64 v[140:141], v[92:93], v[94:95]
	s_mov_b32 s9, 0xbfc2375f
	v_fma_f64 v[6:7], s[12:13], v[134:135], v[4:5]
	v_add_f64 v[10:11], v[10:11], v[14:15]
	v_add_f64 v[170:171], v[132:133], -v[70:71]
	v_add_f64 v[136:137], v[84:85], v[68:69]
	v_mul_f64 v[18:19], v[172:173], s[20:21]
	v_fma_f64 v[24:25], v[138:139], s[18:19], -v[22:23]
	v_add_f64 v[44:45], v[40:41], v[44:45]
	v_fma_f64 v[2:3], s[8:9], v[140:141], v[0:1]
	v_add_f64 v[6:7], v[6:7], v[10:11]
	v_add_f64 v[168:169], v[92:93], -v[94:95]
	v_add_f64 v[130:131], v[88:89], v[90:91]
	v_mul_f64 v[10:11], v[170:171], s[14:15]
	v_fma_f64 v[20:21], v[136:137], s[16:17], -v[18:19]
	v_add_f64 v[24:25], v[24:25], v[44:45]
	v_add_f64 v[46:47], v[2:3], v[6:7]
	;; [unrolled: 1-line block ×3, first 2 shown]
	v_mul_f64 v[2:3], v[168:169], s[10:11]
	v_fma_f64 v[14:15], v[130:131], s[12:13], -v[10:11]
	v_add_f64 v[20:21], v[20:21], v[24:25]
	v_fma_f64 v[6:7], v[128:129], s[8:9], -v[2:3]
	v_add_f64 v[14:15], v[14:15], v[20:21]
	v_add_f64 v[44:45], v[6:7], v[14:15]
	v_fma_f64 v[6:7], v[144:145], s[16:17], -v[8:9]
	v_fma_f64 v[8:9], v[82:83], s[18:19], -v[12:13]
	;; [unrolled: 1-line block ×3, first 2 shown]
	v_add_f64 v[12:13], v[42:43], v[12:13]
	v_add_f64 v[8:9], v[8:9], v[12:13]
	v_fma_f64 v[4:5], v[134:135], s[12:13], -v[4:5]
	v_add_f64 v[6:7], v[6:7], v[8:9]
	v_fma_f64 v[0:1], v[140:141], s[8:9], -v[0:1]
	v_add_f64 v[4:5], v[4:5], v[6:7]
	v_fmac_f64_e32 v[26:27], s[22:23], v[150:151]
	v_add_f64 v[50:51], v[0:1], v[4:5]
	v_fmac_f64_e32 v[22:23], s[18:19], v[138:139]
	;; [unrolled: 2-line block ×3, first 2 shown]
	v_add_f64 v[0:1], v[22:23], v[0:1]
	s_mov_b32 s31, 0x3fefac9e
	s_mov_b32 s30, s10
	v_mul_f64 v[16:17], v[154:155], s[20:21]
	v_add_f64 v[0:1], v[18:19], v[0:1]
	s_mov_b32 s29, 0xbfe14ced
	s_mov_b32 s28, s26
	v_mul_f64 v[12:13], v[148:149], s[30:31]
	v_fma_f64 v[18:19], s[16:17], v[74:75], v[16:17]
	v_fmac_f64_e32 v[10:11], s[12:13], v[130:131]
	v_mul_f64 v[8:9], v[146:147], s[28:29]
	v_fma_f64 v[14:15], s[8:9], v[82:83], v[12:13]
	v_add_f64 v[18:19], v[42:43], v[18:19]
	v_mul_f64 v[26:27], v[176:177], s[20:21]
	v_fmac_f64_e32 v[2:3], s[8:9], v[128:129]
	v_add_f64 v[0:1], v[10:11], v[0:1]
	v_mul_f64 v[4:5], v[152:153], s[24:25]
	v_fma_f64 v[10:11], s[18:19], v[144:145], v[8:9]
	v_add_f64 v[14:15], v[14:15], v[18:19]
	v_mul_f64 v[22:23], v[174:175], s[30:31]
	v_fma_f64 v[52:53], v[150:151], s[16:17], -v[26:27]
	v_add_f64 v[48:49], v[2:3], v[0:1]
	v_mul_f64 v[0:1], v[166:167], s[14:15]
	v_fma_f64 v[6:7], s[22:23], v[134:135], v[4:5]
	v_add_f64 v[10:11], v[10:11], v[14:15]
	v_mul_f64 v[18:19], v[172:173], s[28:29]
	v_fma_f64 v[24:25], v[138:139], s[8:9], -v[22:23]
	v_add_f64 v[52:53], v[40:41], v[52:53]
	v_fma_f64 v[2:3], s[12:13], v[140:141], v[0:1]
	v_add_f64 v[6:7], v[6:7], v[10:11]
	v_mul_f64 v[10:11], v[170:171], s[24:25]
	v_fma_f64 v[20:21], v[136:137], s[18:19], -v[18:19]
	v_add_f64 v[24:25], v[24:25], v[52:53]
	v_add_f64 v[54:55], v[2:3], v[6:7]
	v_mul_f64 v[2:3], v[168:169], s[14:15]
	v_fma_f64 v[14:15], v[130:131], s[22:23], -v[10:11]
	v_add_f64 v[20:21], v[20:21], v[24:25]
	v_fma_f64 v[6:7], v[128:129], s[12:13], -v[2:3]
	v_add_f64 v[14:15], v[14:15], v[20:21]
	v_add_f64 v[52:53], v[6:7], v[14:15]
	v_fma_f64 v[6:7], v[144:145], s[18:19], -v[8:9]
	v_fma_f64 v[8:9], v[82:83], s[8:9], -v[12:13]
	;; [unrolled: 1-line block ×3, first 2 shown]
	v_add_f64 v[12:13], v[42:43], v[12:13]
	v_add_f64 v[8:9], v[8:9], v[12:13]
	v_fma_f64 v[4:5], v[134:135], s[22:23], -v[4:5]
	v_add_f64 v[6:7], v[6:7], v[8:9]
	v_fma_f64 v[0:1], v[140:141], s[12:13], -v[0:1]
	v_add_f64 v[4:5], v[4:5], v[6:7]
	v_fmac_f64_e32 v[26:27], s[16:17], v[150:151]
	v_add_f64 v[58:59], v[0:1], v[4:5]
	v_fmac_f64_e32 v[22:23], s[8:9], v[138:139]
	;; [unrolled: 2-line block ×3, first 2 shown]
	v_add_f64 v[0:1], v[22:23], v[0:1]
	s_mov_b32 s35, 0x3fd207e7
	s_mov_b32 s34, s24
	v_mul_f64 v[16:17], v[154:155], s[10:11]
	v_add_f64 v[0:1], v[18:19], v[0:1]
	v_mul_f64 v[12:13], v[148:149], s[34:35]
	v_fma_f64 v[18:19], s[8:9], v[74:75], v[16:17]
	v_fmac_f64_e32 v[10:11], s[22:23], v[130:131]
	v_mul_f64 v[8:9], v[146:147], s[14:15]
	v_fma_f64 v[14:15], s[22:23], v[82:83], v[12:13]
	v_add_f64 v[18:19], v[42:43], v[18:19]
	v_mul_f64 v[26:27], v[176:177], s[10:11]
	v_fmac_f64_e32 v[2:3], s[12:13], v[128:129]
	v_add_f64 v[0:1], v[10:11], v[0:1]
	v_mul_f64 v[4:5], v[152:153], s[28:29]
	v_fma_f64 v[10:11], s[12:13], v[144:145], v[8:9]
	v_add_f64 v[14:15], v[14:15], v[18:19]
	v_mul_f64 v[22:23], v[174:175], s[34:35]
	v_fma_f64 v[178:179], v[150:151], s[8:9], -v[26:27]
	v_add_f64 v[56:57], v[2:3], v[0:1]
	v_mul_f64 v[0:1], v[166:167], s[20:21]
	v_fma_f64 v[6:7], s[18:19], v[134:135], v[4:5]
	v_add_f64 v[10:11], v[10:11], v[14:15]
	v_mul_f64 v[18:19], v[172:173], s[14:15]
	v_fma_f64 v[24:25], v[138:139], s[22:23], -v[22:23]
	v_add_f64 v[178:179], v[40:41], v[178:179]
	v_fma_f64 v[2:3], s[16:17], v[140:141], v[0:1]
	v_add_f64 v[6:7], v[6:7], v[10:11]
	v_mul_f64 v[10:11], v[170:171], s[28:29]
	v_fma_f64 v[20:21], v[136:137], s[12:13], -v[18:19]
	v_add_f64 v[24:25], v[24:25], v[178:179]
	v_add_f64 v[180:181], v[2:3], v[6:7]
	v_mul_f64 v[2:3], v[168:169], s[20:21]
	v_fma_f64 v[14:15], v[130:131], s[18:19], -v[10:11]
	v_add_f64 v[20:21], v[20:21], v[24:25]
	v_fma_f64 v[6:7], v[128:129], s[16:17], -v[2:3]
	v_add_f64 v[14:15], v[14:15], v[20:21]
	v_add_f64 v[178:179], v[6:7], v[14:15]
	v_fma_f64 v[6:7], v[144:145], s[12:13], -v[8:9]
	v_fma_f64 v[8:9], v[82:83], s[22:23], -v[12:13]
	;; [unrolled: 1-line block ×3, first 2 shown]
	v_add_f64 v[12:13], v[42:43], v[12:13]
	v_add_f64 v[8:9], v[8:9], v[12:13]
	v_fma_f64 v[4:5], v[134:135], s[18:19], -v[4:5]
	v_add_f64 v[6:7], v[6:7], v[8:9]
	v_fma_f64 v[0:1], v[140:141], s[16:17], -v[0:1]
	v_add_f64 v[4:5], v[4:5], v[6:7]
	v_fmac_f64_e32 v[26:27], s[8:9], v[150:151]
	v_add_f64 v[184:185], v[0:1], v[4:5]
	v_fmac_f64_e32 v[22:23], s[22:23], v[138:139]
	v_add_f64 v[0:1], v[40:41], v[26:27]
	s_mov_b32 s15, 0xbfed1bb4
	v_fmac_f64_e32 v[18:19], s[12:13], v[136:137]
	v_add_f64 v[0:1], v[22:23], v[0:1]
	v_mul_f64 v[16:17], v[154:155], s[14:15]
	v_add_f64 v[0:1], v[18:19], v[0:1]
	v_mul_f64 v[12:13], v[148:149], s[20:21]
	v_fma_f64 v[18:19], s[12:13], v[74:75], v[16:17]
	v_fmac_f64_e32 v[10:11], s[18:19], v[130:131]
	v_mul_f64 v[8:9], v[146:147], s[34:35]
	v_fma_f64 v[14:15], s[16:17], v[82:83], v[12:13]
	v_add_f64 v[18:19], v[42:43], v[18:19]
	v_mul_f64 v[26:27], v[176:177], s[14:15]
	v_fmac_f64_e32 v[2:3], s[16:17], v[128:129]
	v_add_f64 v[0:1], v[10:11], v[0:1]
	v_mul_f64 v[4:5], v[152:153], s[30:31]
	v_fma_f64 v[10:11], s[22:23], v[144:145], v[8:9]
	v_add_f64 v[14:15], v[14:15], v[18:19]
	v_mul_f64 v[22:23], v[174:175], s[20:21]
	v_fma_f64 v[186:187], v[150:151], s[12:13], -v[26:27]
	v_add_f64 v[182:183], v[2:3], v[0:1]
	v_mul_f64 v[0:1], v[166:167], s[26:27]
	v_fma_f64 v[6:7], s[8:9], v[134:135], v[4:5]
	v_add_f64 v[10:11], v[10:11], v[14:15]
	v_mul_f64 v[18:19], v[172:173], s[34:35]
	v_fma_f64 v[24:25], v[138:139], s[16:17], -v[22:23]
	v_add_f64 v[186:187], v[40:41], v[186:187]
	v_fma_f64 v[2:3], s[18:19], v[140:141], v[0:1]
	v_add_f64 v[6:7], v[6:7], v[10:11]
	v_mul_f64 v[10:11], v[170:171], s[30:31]
	v_fma_f64 v[20:21], v[136:137], s[22:23], -v[18:19]
	v_add_f64 v[24:25], v[24:25], v[186:187]
	v_add_f64 v[188:189], v[2:3], v[6:7]
	v_mul_f64 v[2:3], v[168:169], s[26:27]
	v_fma_f64 v[14:15], v[130:131], s[8:9], -v[10:11]
	v_add_f64 v[20:21], v[20:21], v[24:25]
	v_fma_f64 v[6:7], v[128:129], s[18:19], -v[2:3]
	v_add_f64 v[14:15], v[14:15], v[20:21]
	v_add_f64 v[186:187], v[6:7], v[14:15]
	v_fma_f64 v[6:7], v[144:145], s[22:23], -v[8:9]
	v_fma_f64 v[8:9], v[82:83], s[16:17], -v[12:13]
	;; [unrolled: 1-line block ×3, first 2 shown]
	v_add_f64 v[12:13], v[42:43], v[12:13]
	v_add_f64 v[8:9], v[8:9], v[12:13]
	v_fma_f64 v[4:5], v[134:135], s[8:9], -v[4:5]
	v_add_f64 v[6:7], v[6:7], v[8:9]
	v_fma_f64 v[0:1], v[140:141], s[18:19], -v[0:1]
	v_add_f64 v[4:5], v[4:5], v[6:7]
	v_fmac_f64_e32 v[26:27], s[12:13], v[150:151]
	v_add_f64 v[192:193], v[0:1], v[4:5]
	v_fmac_f64_e32 v[22:23], s[16:17], v[138:139]
	v_add_f64 v[0:1], v[40:41], v[26:27]
	v_fmac_f64_e32 v[18:19], s[22:23], v[136:137]
	v_add_f64 v[0:1], v[22:23], v[0:1]
	v_mul_f64 v[16:17], v[154:155], s[28:29]
	v_add_f64 v[0:1], v[18:19], v[0:1]
	v_mul_f64 v[12:13], v[148:149], s[14:15]
	v_fma_f64 v[18:19], s[18:19], v[74:75], v[16:17]
	v_fmac_f64_e32 v[10:11], s[8:9], v[130:131]
	v_mul_f64 v[8:9], v[146:147], s[10:11]
	v_fma_f64 v[14:15], s[12:13], v[82:83], v[12:13]
	v_add_f64 v[18:19], v[42:43], v[18:19]
	v_mul_f64 v[26:27], v[176:177], s[28:29]
	v_fmac_f64_e32 v[2:3], s[18:19], v[128:129]
	v_add_f64 v[0:1], v[10:11], v[0:1]
	v_mul_f64 v[4:5], v[152:153], s[20:21]
	v_fma_f64 v[10:11], s[8:9], v[144:145], v[8:9]
	v_add_f64 v[14:15], v[14:15], v[18:19]
	v_mul_f64 v[22:23], v[174:175], s[14:15]
	v_fma_f64 v[146:147], v[150:151], s[18:19], -v[26:27]
	v_add_f64 v[190:191], v[2:3], v[0:1]
	v_mul_f64 v[0:1], v[166:167], s[24:25]
	v_fma_f64 v[6:7], s[16:17], v[134:135], v[4:5]
	v_add_f64 v[10:11], v[10:11], v[14:15]
	v_mul_f64 v[18:19], v[172:173], s[10:11]
	v_fma_f64 v[24:25], v[138:139], s[12:13], -v[22:23]
	v_add_f64 v[146:147], v[40:41], v[146:147]
	v_fma_f64 v[2:3], s[22:23], v[140:141], v[0:1]
	v_add_f64 v[6:7], v[6:7], v[10:11]
	v_mul_f64 v[10:11], v[170:171], s[20:21]
	v_fma_f64 v[20:21], v[136:137], s[8:9], -v[18:19]
	v_add_f64 v[24:25], v[24:25], v[146:147]
	v_add_f64 v[148:149], v[2:3], v[6:7]
	v_mul_f64 v[2:3], v[168:169], s[24:25]
	v_fma_f64 v[14:15], v[130:131], s[16:17], -v[10:11]
	v_add_f64 v[20:21], v[20:21], v[24:25]
	v_fma_f64 v[6:7], v[128:129], s[22:23], -v[2:3]
	v_add_f64 v[14:15], v[14:15], v[20:21]
	v_add_f64 v[146:147], v[6:7], v[14:15]
	v_fma_f64 v[6:7], v[144:145], s[8:9], -v[8:9]
	v_fma_f64 v[8:9], v[82:83], s[12:13], -v[12:13]
	v_fma_f64 v[12:13], v[74:75], s[18:19], -v[16:17]
	v_add_f64 v[12:13], v[42:43], v[12:13]
	v_add_f64 v[8:9], v[8:9], v[12:13]
	v_fma_f64 v[4:5], v[134:135], s[16:17], -v[4:5]
	v_add_f64 v[6:7], v[6:7], v[8:9]
	v_fma_f64 v[0:1], v[140:141], s[22:23], -v[0:1]
	v_add_f64 v[4:5], v[4:5], v[6:7]
	v_fmac_f64_e32 v[26:27], s[18:19], v[150:151]
	v_add_f64 v[140:141], v[0:1], v[4:5]
	v_fmac_f64_e32 v[22:23], s[12:13], v[138:139]
	;; [unrolled: 2-line block ×5, first 2 shown]
	v_add_f64 v[0:1], v[10:11], v[0:1]
	v_add_f64 v[138:139], v[2:3], v[0:1]
	;; [unrolled: 1-line block ×22, first 2 shown]
	v_mul_u32_u24_e32 v0, 0x160, v228
	v_or_b32_e32 v0, v0, v212
	v_lshlrev_b32_e32 v0, 4, v0
	ds_write_b128 v0, v[40:43]
	ds_write_b128 v0, v[138:141] offset:512
	ds_write_b128 v0, v[190:193] offset:1024
	;; [unrolled: 1-line block ×10, first 2 shown]
.LBB0_9:
	s_or_b64 exec, exec, s[0:1]
	s_waitcnt lgkmcnt(0)
	s_barrier
	ds_read_b128 v[40:43], v156
	ds_read_b128 v[44:47], v156 offset:2816
	ds_read_b128 v[54:57], v156 offset:5632
	;; [unrolled: 1-line block ×9, first 2 shown]
	s_waitcnt lgkmcnt(5)
	v_mul_f64 v[4:5], v[110:111], v[64:65]
	s_waitcnt lgkmcnt(3)
	v_mul_f64 v[8:9], v[106:107], v[72:73]
	v_mul_f64 v[2:3], v[98:99], v[54:55]
	v_fmac_f64_e32 v[4:5], v[108:109], v[62:63]
	v_fmac_f64_e32 v[8:9], v[104:105], v[70:71]
	s_waitcnt lgkmcnt(1)
	v_mul_f64 v[14:15], v[102:103], v[78:79]
	v_mov_b32_e32 v48, s2
	v_mov_b32_e32 v49, s3
	v_mad_u64_u32 v[50:51], s[0:1], s6, v160, 0
	v_mul_f64 v[0:1], v[98:99], v[56:57]
	v_fma_f64 v[2:3], v[96:97], v[56:57], -v[2:3]
	v_mul_f64 v[6:7], v[110:111], v[62:63]
	v_mul_f64 v[10:11], v[106:107], v[70:71]
	;; [unrolled: 1-line block ×3, first 2 shown]
	v_fma_f64 v[14:15], v[100:101], v[80:81], -v[14:15]
	v_mul_f64 v[16:17], v[114:115], v[60:61]
	v_add_f64 v[56:57], v[4:5], v[8:9]
	s_mov_b32 s2, 0x134454ff
	v_fmac_f64_e32 v[0:1], v[96:97], v[54:55]
	v_fma_f64 v[6:7], v[108:109], v[64:65], -v[6:7]
	v_fma_f64 v[10:11], v[104:105], v[72:73], -v[10:11]
	v_fmac_f64_e32 v[12:13], v[100:101], v[78:79]
	v_fmac_f64_e32 v[16:17], v[112:113], v[58:59]
	v_mul_f64 v[18:19], v[114:115], v[58:59]
	v_mul_f64 v[20:21], v[126:127], v[68:69]
	v_fma_f64 v[58:59], -0.5, v[56:57], v[40:41]
	v_add_f64 v[56:57], v[2:3], -v[14:15]
	s_mov_b32 s3, 0xbfee6f0e
	s_mov_b32 s0, 0x4755a5e
	;; [unrolled: 1-line block ×4, first 2 shown]
	v_fma_f64 v[18:19], v[112:113], v[60:61], -v[18:19]
	v_fmac_f64_e32 v[20:21], v[124:125], v[66:67]
	v_mul_f64 v[22:23], v[126:127], v[66:67]
	v_fma_f64 v[62:63], s[2:3], v[56:57], v[58:59]
	v_add_f64 v[60:61], v[6:7], -v[10:11]
	s_mov_b32 s1, 0xbfe2cf23
	v_add_f64 v[64:65], v[0:1], -v[4:5]
	v_add_f64 v[66:67], v[12:13], -v[8:9]
	s_mov_b32 s8, 0x372fe950
	v_fmac_f64_e32 v[58:59], s[10:11], v[56:57]
	s_mov_b32 s13, 0x3fe2cf23
	s_mov_b32 s12, s0
	v_fmac_f64_e32 v[62:63], s[0:1], v[60:61]
	v_add_f64 v[64:65], v[64:65], v[66:67]
	s_mov_b32 s9, 0x3fd3c6ef
	v_fmac_f64_e32 v[58:59], s[12:13], v[60:61]
	s_waitcnt lgkmcnt(0)
	v_mul_f64 v[54:55], v[118:119], v[82:83]
	v_fmac_f64_e32 v[62:63], s[8:9], v[64:65]
	v_fmac_f64_e32 v[58:59], s[8:9], v[64:65]
	v_add_f64 v[64:65], v[0:1], v[12:13]
	v_fma_f64 v[86:87], v[116:117], v[84:85], -v[54:55]
	v_add_f64 v[54:55], v[40:41], v[0:1]
	v_fmac_f64_e32 v[40:41], -0.5, v[64:65]
	v_fma_f64 v[22:23], v[124:125], v[68:69], -v[22:23]
	v_add_f64 v[54:55], v[54:55], v[4:5]
	v_fma_f64 v[66:67], s[10:11], v[60:61], v[40:41]
	v_add_f64 v[64:65], v[4:5], -v[0:1]
	v_add_f64 v[68:69], v[8:9], -v[12:13]
	v_fmac_f64_e32 v[40:41], s[2:3], v[60:61]
	v_add_f64 v[60:61], v[6:7], v[10:11]
	v_add_f64 v[54:55], v[54:55], v[8:9]
	v_fmac_f64_e32 v[66:67], s[0:1], v[56:57]
	v_add_f64 v[64:65], v[64:65], v[68:69]
	v_fmac_f64_e32 v[40:41], s[12:13], v[56:57]
	v_fma_f64 v[60:61], -0.5, v[60:61], v[42:43]
	v_add_f64 v[0:1], v[0:1], -v[12:13]
	v_add_f64 v[54:55], v[54:55], v[12:13]
	v_fmac_f64_e32 v[66:67], s[8:9], v[64:65]
	v_fmac_f64_e32 v[40:41], s[8:9], v[64:65]
	v_fma_f64 v[64:65], s[10:11], v[0:1], v[60:61]
	v_add_f64 v[4:5], v[4:5], -v[8:9]
	v_add_f64 v[8:9], v[2:3], -v[6:7]
	;; [unrolled: 1-line block ×3, first 2 shown]
	v_fmac_f64_e32 v[60:61], s[2:3], v[0:1]
	v_fmac_f64_e32 v[64:65], s[12:13], v[4:5]
	v_add_f64 v[8:9], v[8:9], v[12:13]
	v_fmac_f64_e32 v[60:61], s[0:1], v[4:5]
	v_fmac_f64_e32 v[64:65], s[8:9], v[8:9]
	v_fmac_f64_e32 v[60:61], s[8:9], v[8:9]
	v_add_f64 v[8:9], v[2:3], v[14:15]
	v_add_f64 v[56:57], v[42:43], v[2:3]
	v_fmac_f64_e32 v[42:43], -0.5, v[8:9]
	v_fma_f64 v[68:69], s[2:3], v[4:5], v[42:43]
	v_fmac_f64_e32 v[42:43], s[10:11], v[4:5]
	v_mul_f64 v[24:25], v[122:123], v[76:77]
	v_fmac_f64_e32 v[68:69], s[12:13], v[0:1]
	v_fmac_f64_e32 v[42:43], s[0:1], v[0:1]
	v_add_f64 v[0:1], v[44:45], v[16:17]
	v_fmac_f64_e32 v[24:25], v[120:121], v[74:75]
	v_mul_f64 v[80:81], v[118:119], v[84:85]
	v_add_f64 v[0:1], v[0:1], v[20:21]
	v_fmac_f64_e32 v[80:81], v[116:117], v[82:83]
	v_add_f64 v[0:1], v[0:1], v[24:25]
	v_mul_f64 v[26:27], v[122:123], v[74:75]
	v_add_f64 v[56:57], v[56:57], v[6:7]
	v_add_f64 v[2:3], v[6:7], -v[2:3]
	v_add_f64 v[6:7], v[10:11], -v[14:15]
	v_add_f64 v[70:71], v[0:1], v[80:81]
	v_add_f64 v[0:1], v[20:21], v[24:25]
	v_fma_f64 v[26:27], v[120:121], v[76:77], -v[26:27]
	v_add_f64 v[2:3], v[2:3], v[6:7]
	v_fma_f64 v[74:75], -0.5, v[0:1], v[44:45]
	v_add_f64 v[0:1], v[18:19], -v[86:87]
	v_fmac_f64_e32 v[68:69], s[8:9], v[2:3]
	v_fmac_f64_e32 v[42:43], s[8:9], v[2:3]
	v_fma_f64 v[78:79], s[2:3], v[0:1], v[74:75]
	v_add_f64 v[2:3], v[22:23], -v[26:27]
	v_add_f64 v[4:5], v[16:17], -v[20:21]
	;; [unrolled: 1-line block ×3, first 2 shown]
	v_fmac_f64_e32 v[74:75], s[10:11], v[0:1]
	v_fmac_f64_e32 v[78:79], s[0:1], v[2:3]
	v_add_f64 v[4:5], v[4:5], v[6:7]
	v_fmac_f64_e32 v[74:75], s[12:13], v[2:3]
	v_fmac_f64_e32 v[78:79], s[8:9], v[4:5]
	;; [unrolled: 1-line block ×3, first 2 shown]
	v_add_f64 v[4:5], v[16:17], v[80:81]
	v_fmac_f64_e32 v[44:45], -0.5, v[4:5]
	v_fma_f64 v[82:83], s[10:11], v[2:3], v[44:45]
	v_fmac_f64_e32 v[44:45], s[2:3], v[2:3]
	v_fmac_f64_e32 v[82:83], s[0:1], v[0:1]
	;; [unrolled: 1-line block ×3, first 2 shown]
	v_add_f64 v[0:1], v[46:47], v[18:19]
	v_add_f64 v[0:1], v[0:1], v[22:23]
	;; [unrolled: 1-line block ×3, first 2 shown]
	v_add_f64 v[4:5], v[20:21], -v[16:17]
	v_add_f64 v[6:7], v[24:25], -v[80:81]
	v_add_f64 v[72:73], v[0:1], v[86:87]
	v_add_f64 v[0:1], v[22:23], v[26:27]
	;; [unrolled: 1-line block ×3, first 2 shown]
	v_fma_f64 v[76:77], -0.5, v[0:1], v[46:47]
	v_add_f64 v[0:1], v[16:17], -v[80:81]
	v_fmac_f64_e32 v[82:83], s[8:9], v[4:5]
	v_fmac_f64_e32 v[44:45], s[8:9], v[4:5]
	v_fma_f64 v[80:81], s[10:11], v[0:1], v[76:77]
	v_add_f64 v[2:3], v[20:21], -v[24:25]
	v_add_f64 v[4:5], v[18:19], -v[22:23]
	;; [unrolled: 1-line block ×3, first 2 shown]
	v_fmac_f64_e32 v[76:77], s[2:3], v[0:1]
	v_fmac_f64_e32 v[80:81], s[12:13], v[2:3]
	v_add_f64 v[4:5], v[4:5], v[6:7]
	v_fmac_f64_e32 v[76:77], s[0:1], v[2:3]
	v_fmac_f64_e32 v[80:81], s[8:9], v[4:5]
	;; [unrolled: 1-line block ×3, first 2 shown]
	v_add_f64 v[4:5], v[18:19], v[86:87]
	v_fmac_f64_e32 v[46:47], -0.5, v[4:5]
	v_add_f64 v[56:57], v[56:57], v[10:11]
	v_fma_f64 v[84:85], s[2:3], v[2:3], v[46:47]
	v_add_f64 v[4:5], v[22:23], -v[18:19]
	v_add_f64 v[6:7], v[26:27], -v[86:87]
	v_fmac_f64_e32 v[46:47], s[10:11], v[2:3]
	v_add_f64 v[56:57], v[56:57], v[14:15]
	v_fmac_f64_e32 v[84:85], s[12:13], v[0:1]
	v_add_f64 v[4:5], v[4:5], v[6:7]
	v_fmac_f64_e32 v[46:47], s[0:1], v[0:1]
	v_fmac_f64_e32 v[84:85], s[8:9], v[4:5]
	;; [unrolled: 1-line block ×3, first 2 shown]
	ds_write_b128 v156, v[54:57]
	ds_write_b128 v156, v[62:65] offset:5632
	ds_write_b128 v156, v[66:69] offset:11264
	;; [unrolled: 1-line block ×9, first 2 shown]
	s_waitcnt lgkmcnt(0)
	s_barrier
	ds_read_b128 v[40:43], v156
	ds_read_b128 v[44:47], v156 offset:2816
	v_mov_b32_e32 v52, v51
	v_mad_u64_u32 v[0:1], s[0:1], s7, v160, v[52:53]
	v_mov_b32_e32 v51, v0
	s_waitcnt lgkmcnt(1)
	v_mul_f64 v[0:1], v[38:39], v[42:43]
	s_mov_b32 s0, 0x29e4129e
	v_fmac_f64_e32 v[0:1], v[36:37], v[40:41]
	s_mov_b32 s1, 0x3f429e41
	v_mul_f64 v[52:53], v[0:1], s[0:1]
	v_mul_f64 v[0:1], v[38:39], v[40:41]
	v_fma_f64 v[0:1], v[36:37], v[42:43], -v[0:1]
	ds_read_b128 v[36:39], v156 offset:14080
	ds_read_b128 v[40:43], v156 offset:11264
	v_mul_f64 v[54:55], v[0:1], s[0:1]
	v_mad_u64_u32 v[0:1], s[2:3], s4, v158, 0
	v_mov_b32_e32 v2, v1
	v_mad_u64_u32 v[2:3], s[2:3], s5, v158, v[2:3]
	v_mov_b32_e32 v1, v2
	v_lshl_add_u64 v[2:3], v[50:51], 4, v[48:49]
	v_lshl_add_u64 v[0:1], v[0:1], 4, v[2:3]
	s_waitcnt lgkmcnt(1)
	v_mul_f64 v[2:3], v[234:235], v[38:39]
	v_fmac_f64_e32 v[2:3], v[232:233], v[36:37]
	v_mul_f64 v[48:49], v[2:3], s[0:1]
	v_mul_f64 v[2:3], v[234:235], v[36:37]
	v_fma_f64 v[2:3], v[232:233], v[38:39], -v[2:3]
	v_mul_f64 v[50:51], v[2:3], s[0:1]
	v_mul_f64 v[2:3], v[218:219], v[46:47]
	v_mov_b32_e32 v16, 0x3700
	v_fmac_f64_e32 v[2:3], v[216:217], v[44:45]
	global_store_dwordx4 v[0:1], v[52:55], off
	v_mad_u64_u32 v[0:1], s[2:3], s4, v16, v[0:1]
	s_mul_i32 s6, s5, 0x3700
	v_mul_f64 v[8:9], v[2:3], s[0:1]
	v_mul_f64 v[2:3], v[218:219], v[44:45]
	v_add_u32_e32 v1, s6, v1
	v_fma_f64 v[2:3], v[216:217], v[46:47], -v[2:3]
	v_mov_b32_e32 v17, 0xffffd400
	global_store_dwordx4 v[0:1], v[48:51], off
	v_mul_f64 v[10:11], v[2:3], s[0:1]
	v_mad_u64_u32 v[4:5], s[2:3], s4, v17, v[0:1]
	ds_read_b128 v[0:3], v156 offset:16896
	s_mul_i32 s2, s5, 0xffffd400
	s_sub_i32 s5, s2, s4
	v_add_u32_e32 v5, s5, v5
	global_store_dwordx4 v[4:5], v[8:11], off
	ds_read_b128 v[8:11], v156 offset:19712
	s_waitcnt lgkmcnt(1)
	v_mul_f64 v[6:7], v[222:223], v[2:3]
	v_fmac_f64_e32 v[6:7], v[220:221], v[0:1]
	v_mul_f64 v[0:1], v[222:223], v[0:1]
	v_fma_f64 v[0:1], v[220:221], v[2:3], -v[0:1]
	v_mul_f64 v[38:39], v[0:1], s[0:1]
	ds_read_b128 v[0:3], v156 offset:5632
	v_mul_f64 v[36:37], v[6:7], s[0:1]
	v_mad_u64_u32 v[12:13], s[2:3], s4, v16, v[4:5]
	ds_read_b128 v[4:7], v156 offset:8448
	s_waitcnt lgkmcnt(1)
	v_mul_f64 v[14:15], v[250:251], v[2:3]
	v_add_u32_e32 v13, s6, v13
	v_fmac_f64_e32 v[14:15], v[248:249], v[0:1]
	v_mul_f64 v[0:1], v[250:251], v[0:1]
	global_store_dwordx4 v[12:13], v[36:39], off
	v_fma_f64 v[0:1], v[248:249], v[2:3], -v[0:1]
	v_mad_u64_u32 v[12:13], s[2:3], s4, v17, v[12:13]
	v_mul_f64 v[38:39], v[0:1], s[0:1]
	v_add_u32_e32 v13, s5, v13
	v_mul_f64 v[0:1], v[246:247], v[10:11]
	v_mul_f64 v[2:3], v[246:247], v[8:9]
	v_fmac_f64_e32 v[0:1], v[244:245], v[8:9]
	v_fma_f64 v[2:3], v[244:245], v[10:11], -v[2:3]
	v_mad_u64_u32 v[8:9], s[2:3], s4, v16, v[12:13]
	v_mul_f64 v[36:37], v[14:15], s[0:1]
	v_mul_f64 v[0:1], v[0:1], s[0:1]
	;; [unrolled: 1-line block ×3, first 2 shown]
	v_add_u32_e32 v9, s6, v9
	global_store_dwordx4 v[12:13], v[36:39], off
	global_store_dwordx4 v[8:9], v[0:3], off
	v_mad_u64_u32 v[12:13], s[2:3], s4, v17, v[8:9]
	s_waitcnt lgkmcnt(0)
	v_mul_f64 v[0:1], v[30:31], v[6:7]
	v_mul_f64 v[2:3], v[30:31], v[4:5]
	v_fmac_f64_e32 v[0:1], v[28:29], v[4:5]
	v_fma_f64 v[2:3], v[28:29], v[6:7], -v[2:3]
	ds_read_b128 v[4:7], v156 offset:22528
	v_mul_f64 v[0:1], v[0:1], s[0:1]
	v_mul_f64 v[2:3], v[2:3], s[0:1]
	v_add_u32_e32 v13, s5, v13
	global_store_dwordx4 v[12:13], v[0:3], off
	ds_read_b128 v[0:3], v156 offset:25344
	s_waitcnt lgkmcnt(1)
	v_mul_f64 v[8:9], v[254:255], v[6:7]
	v_fmac_f64_e32 v[8:9], v[252:253], v[4:5]
	v_mul_f64 v[4:5], v[254:255], v[4:5]
	v_fma_f64 v[4:5], v[252:253], v[6:7], -v[4:5]
	v_mad_u64_u32 v[12:13], s[2:3], s4, v16, v[12:13]
	v_mul_f64 v[8:9], v[8:9], s[0:1]
	v_mul_f64 v[10:11], v[4:5], s[0:1]
	v_add_u32_e32 v13, s6, v13
	global_store_dwordx4 v[12:13], v[8:11], off
	s_nop 1
	v_accvgpr_read_b32 v8, a24
	v_accvgpr_read_b32 v10, a26
	;; [unrolled: 1-line block ×4, first 2 shown]
	v_mul_f64 v[4:5], v[10:11], v[42:43]
	v_mul_f64 v[6:7], v[10:11], v[40:41]
	v_fmac_f64_e32 v[4:5], v[8:9], v[40:41]
	v_fma_f64 v[6:7], v[8:9], v[42:43], -v[6:7]
	v_mad_u64_u32 v[8:9], s[2:3], s4, v17, v[12:13]
	v_mul_f64 v[4:5], v[4:5], s[0:1]
	v_mul_f64 v[6:7], v[6:7], s[0:1]
	v_add_u32_e32 v9, s5, v9
	global_store_dwordx4 v[8:9], v[4:7], off
	s_waitcnt lgkmcnt(0)
	s_nop 0
	v_mul_f64 v[4:5], v[34:35], v[2:3]
	v_fmac_f64_e32 v[4:5], v[32:33], v[0:1]
	v_mul_f64 v[0:1], v[34:35], v[0:1]
	v_fma_f64 v[0:1], v[32:33], v[2:3], -v[0:1]
	v_mul_f64 v[4:5], v[4:5], s[0:1]
	v_mul_f64 v[6:7], v[0:1], s[0:1]
	v_mad_u64_u32 v[0:1], s[0:1], s4, v16, v[8:9]
	v_add_u32_e32 v1, s6, v1
	global_store_dwordx4 v[0:1], v[4:7], off
.LBB0_10:
	s_endpgm
	.section	.rodata,"a",@progbits
	.p2align	6, 0x0
	.amdhsa_kernel bluestein_single_back_len1760_dim1_dp_op_CI_CI
		.amdhsa_group_segment_fixed_size 28160
		.amdhsa_private_segment_fixed_size 0
		.amdhsa_kernarg_size 104
		.amdhsa_user_sgpr_count 2
		.amdhsa_user_sgpr_dispatch_ptr 0
		.amdhsa_user_sgpr_queue_ptr 0
		.amdhsa_user_sgpr_kernarg_segment_ptr 1
		.amdhsa_user_sgpr_dispatch_id 0
		.amdhsa_user_sgpr_kernarg_preload_length 0
		.amdhsa_user_sgpr_kernarg_preload_offset 0
		.amdhsa_user_sgpr_private_segment_size 0
		.amdhsa_uses_dynamic_stack 0
		.amdhsa_enable_private_segment 0
		.amdhsa_system_sgpr_workgroup_id_x 1
		.amdhsa_system_sgpr_workgroup_id_y 0
		.amdhsa_system_sgpr_workgroup_id_z 0
		.amdhsa_system_sgpr_workgroup_info 0
		.amdhsa_system_vgpr_workitem_id 0
		.amdhsa_next_free_vgpr 307
		.amdhsa_next_free_sgpr 44
		.amdhsa_accum_offset 256
		.amdhsa_reserve_vcc 1
		.amdhsa_float_round_mode_32 0
		.amdhsa_float_round_mode_16_64 0
		.amdhsa_float_denorm_mode_32 3
		.amdhsa_float_denorm_mode_16_64 3
		.amdhsa_dx10_clamp 1
		.amdhsa_ieee_mode 1
		.amdhsa_fp16_overflow 0
		.amdhsa_tg_split 0
		.amdhsa_exception_fp_ieee_invalid_op 0
		.amdhsa_exception_fp_denorm_src 0
		.amdhsa_exception_fp_ieee_div_zero 0
		.amdhsa_exception_fp_ieee_overflow 0
		.amdhsa_exception_fp_ieee_underflow 0
		.amdhsa_exception_fp_ieee_inexact 0
		.amdhsa_exception_int_div_zero 0
	.end_amdhsa_kernel
	.text
.Lfunc_end0:
	.size	bluestein_single_back_len1760_dim1_dp_op_CI_CI, .Lfunc_end0-bluestein_single_back_len1760_dim1_dp_op_CI_CI
                                        ; -- End function
	.section	.AMDGPU.csdata,"",@progbits
; Kernel info:
; codeLenInByte = 17204
; NumSgprs: 50
; NumVgprs: 256
; NumAgprs: 51
; TotalNumVgprs: 307
; ScratchSize: 0
; MemoryBound: 0
; FloatMode: 240
; IeeeMode: 1
; LDSByteSize: 28160 bytes/workgroup (compile time only)
; SGPRBlocks: 6
; VGPRBlocks: 38
; NumSGPRsForWavesPerEU: 50
; NumVGPRsForWavesPerEU: 307
; AccumOffset: 256
; Occupancy: 1
; WaveLimiterHint : 1
; COMPUTE_PGM_RSRC2:SCRATCH_EN: 0
; COMPUTE_PGM_RSRC2:USER_SGPR: 2
; COMPUTE_PGM_RSRC2:TRAP_HANDLER: 0
; COMPUTE_PGM_RSRC2:TGID_X_EN: 1
; COMPUTE_PGM_RSRC2:TGID_Y_EN: 0
; COMPUTE_PGM_RSRC2:TGID_Z_EN: 0
; COMPUTE_PGM_RSRC2:TIDIG_COMP_CNT: 0
; COMPUTE_PGM_RSRC3_GFX90A:ACCUM_OFFSET: 63
; COMPUTE_PGM_RSRC3_GFX90A:TG_SPLIT: 0
	.text
	.p2alignl 6, 3212836864
	.fill 256, 4, 3212836864
	.type	__hip_cuid_ef90b64d0da731ad,@object ; @__hip_cuid_ef90b64d0da731ad
	.section	.bss,"aw",@nobits
	.globl	__hip_cuid_ef90b64d0da731ad
__hip_cuid_ef90b64d0da731ad:
	.byte	0                               ; 0x0
	.size	__hip_cuid_ef90b64d0da731ad, 1

	.ident	"AMD clang version 19.0.0git (https://github.com/RadeonOpenCompute/llvm-project roc-6.4.0 25133 c7fe45cf4b819c5991fe208aaa96edf142730f1d)"
	.section	".note.GNU-stack","",@progbits
	.addrsig
	.addrsig_sym __hip_cuid_ef90b64d0da731ad
	.amdgpu_metadata
---
amdhsa.kernels:
  - .agpr_count:     51
    .args:
      - .actual_access:  read_only
        .address_space:  global
        .offset:         0
        .size:           8
        .value_kind:     global_buffer
      - .actual_access:  read_only
        .address_space:  global
        .offset:         8
        .size:           8
        .value_kind:     global_buffer
      - .actual_access:  read_only
        .address_space:  global
        .offset:         16
        .size:           8
        .value_kind:     global_buffer
      - .actual_access:  read_only
        .address_space:  global
        .offset:         24
        .size:           8
        .value_kind:     global_buffer
      - .actual_access:  read_only
        .address_space:  global
        .offset:         32
        .size:           8
        .value_kind:     global_buffer
      - .offset:         40
        .size:           8
        .value_kind:     by_value
      - .address_space:  global
        .offset:         48
        .size:           8
        .value_kind:     global_buffer
      - .address_space:  global
        .offset:         56
        .size:           8
        .value_kind:     global_buffer
      - .address_space:  global
        .offset:         64
        .size:           8
        .value_kind:     global_buffer
      - .address_space:  global
        .offset:         72
        .size:           8
        .value_kind:     global_buffer
      - .offset:         80
        .size:           4
        .value_kind:     by_value
      - .address_space:  global
        .offset:         88
        .size:           8
        .value_kind:     global_buffer
      - .address_space:  global
        .offset:         96
        .size:           8
        .value_kind:     global_buffer
    .group_segment_fixed_size: 28160
    .kernarg_segment_align: 8
    .kernarg_segment_size: 104
    .language:       OpenCL C
    .language_version:
      - 2
      - 0
    .max_flat_workgroup_size: 176
    .name:           bluestein_single_back_len1760_dim1_dp_op_CI_CI
    .private_segment_fixed_size: 0
    .sgpr_count:     50
    .sgpr_spill_count: 0
    .symbol:         bluestein_single_back_len1760_dim1_dp_op_CI_CI.kd
    .uniform_work_group_size: 1
    .uses_dynamic_stack: false
    .vgpr_count:     307
    .vgpr_spill_count: 0
    .wavefront_size: 64
amdhsa.target:   amdgcn-amd-amdhsa--gfx950
amdhsa.version:
  - 1
  - 2
...

	.end_amdgpu_metadata
